;; amdgpu-corpus repo=ROCm/aiter kind=harvested arch=n/a opt=n/a

/root/src/amdgpu-assembly/repos/ROCm__aiter/hsa/gfx942/fmha_v3_bwd/bwd_hd128_bf16_a16_rtz.co:	file format elf64-amdgpu

Disassembly of section .text:

0000000000003e00 <_ZN5aiter27fmha_bwd_hd128_bf16_a16_rtzE>:
	s_and_b32 s1, s1, 0xffff                                   // 000000003E00: 8601FF01 0000FFFF
	s_load_dwordx2 s[32:33], s[0:1], 0x0                       // 000000003E08: C0060800 00000000
	s_load_dwordx2 s[36:37], s[0:1], 0x10                      // 000000003E10: C0060900 00000010
	s_load_dwordx2 s[40:41], s[0:1], 0x20                      // 000000003E18: C0060A00 00000020
	s_load_dwordx2 s[8:9], s[0:1], 0x30                        // 000000003E20: C0060200 00000030
	s_load_dwordx2 s[12:13], s[0:1], 0x40                      // 000000003E28: C0060300 00000040
	s_load_dwordx2 s[16:17], s[0:1], 0x50                      // 000000003E30: C0060400 00000050
	s_load_dwordx2 s[20:21], s[0:1], 0x60                      // 000000003E38: C0060500 00000060
	s_load_dwordx2 s[24:25], s[0:1], 0x70                      // 000000003E40: C0060600 00000070
	s_load_dwordx2 s[28:29], s[0:1], 0x80                      // 000000003E48: C0060700 00000080
	s_load_dword s48, s[0:1], 0x90                             // 000000003E50: C0020C00 00000090
	s_load_dword s49, s[0:1], 0xa0                             // 000000003E58: C0020C40 000000A0
	s_load_dword s50, s[0:1], 0xb0                             // 000000003E60: C0020C80 000000B0
	s_load_dword s51, s[0:1], 0xc0                             // 000000003E68: C0020CC0 000000C0
	s_load_dword s52, s[0:1], 0xd0                             // 000000003E70: C0020D00 000000D0
	s_load_dword s53, s[0:1], 0xe0                             // 000000003E78: C0020D40 000000E0
	s_load_dword s70, s[0:1], 0xf0                             // 000000003E80: C0021180 000000F0
	s_load_dword s44, s[0:1], 0x100                            // 000000003E88: C0020B00 00000100
	s_load_dword s5, s[0:1], 0x110                             // 000000003E90: C0020140 00000110
	s_load_dword s6, s[0:1], 0x120                             // 000000003E98: C0020180 00000120
	s_load_dword s7, s[0:1], 0x130                             // 000000003EA0: C00201C0 00000130
	s_load_dword s46, s[0:1], 0x140                            // 000000003EA8: C0020B80 00000140
	s_load_dword s87, s[0:1], 0x180                            // 000000003EB0: C00215C0 00000180
	s_load_dword s86, s[0:1], 0x240                            // 000000003EB8: C0021580 00000240
	v_lshrrev_b32_e32 v1, 10, v0                               // 000000003EC0: 2002008A
	v_lshrrev_b32_e32 v2, 10, v1                               // 000000003EC4: 2004028A
	v_and_b32_e32 v2, 0x3ff, v2                                // 000000003EC8: 260404FF 000003FF
	v_and_b32_e32 v1, 0x3ff, v1                                // 000000003ED0: 260202FF 000003FF
	v_and_b32_e32 v0, 0x3ff, v0                                // 000000003ED8: 260000FF 000003FF
	v_lshrrev_b32_e32 v3, 6, v0                                // 000000003EE0: 20060086
	v_and_b32_e32 v0, 63, v0                                   // 000000003EE4: 260000BF
	s_mov_b32 s2, s2                                           // 000000003EE8: BE820002
	s_mov_b32 s3, s3                                           // 000000003EEC: BE830003
	s_mov_b32 s4, s4                                           // 000000003EF0: BE840004
	v_readfirstlane_b32 s47, v3                                // 000000003EF4: 7E5E0503
	s_waitcnt lgkmcnt(0)                                       // 000000003EF8: BF8CC07F
	s_mov_b32 s10, 0x80000000                                  // 000000003EFC: BE8A00FF 80000000
	s_mov_b32 s14, 0x80000000                                  // 000000003F04: BE8E00FF 80000000
	s_mov_b32 s18, 0x80000000                                  // 000000003F0C: BE9200FF 80000000
	s_mov_b32 s22, 0x80000000                                  // 000000003F14: BE9600FF 80000000
	s_mov_b32 s26, 0x80000000                                  // 000000003F1C: BE9A00FF 80000000
	s_mov_b32 s30, 0x80000000                                  // 000000003F24: BE9E00FF 80000000
	s_mov_b32 s38, 0x80000000                                  // 000000003F2C: BEA600FF 80000000
	s_mov_b32 s42, 0x80000000                                  // 000000003F34: BEAA00FF 80000000
	s_mov_b32 s11, 0x20000                                     // 000000003F3C: BE8B00FF 00020000
	s_mov_b32 s15, 0x20000                                     // 000000003F44: BE8F00FF 00020000
	s_mov_b32 s19, 0x20000                                     // 000000003F4C: BE9300FF 00020000
	s_mov_b32 s23, 0x20000                                     // 000000003F54: BE9700FF 00020000
	s_mov_b32 s27, 0x20000                                     // 000000003F5C: BE9B00FF 00020000
	s_mov_b32 s31, 0x20000                                     // 000000003F64: BE9F00FF 00020000
	s_mov_b32 s39, 0x20000                                     // 000000003F6C: BEA700FF 00020000
	s_mov_b32 s43, 0x20000                                     // 000000003F74: BEAB00FF 00020000
	s_and_b32 s9, s9, 0xffff                                   // 000000003F7C: 8609FF09 0000FFFF
	s_and_b32 s13, s13, 0xffff                                 // 000000003F84: 860DFF0D 0000FFFF
	s_and_b32 s17, s17, 0xffff                                 // 000000003F8C: 8611FF11 0000FFFF
	s_and_b32 s21, s21, 0xffff                                 // 000000003F94: 8615FF15 0000FFFF
	s_and_b32 s25, s25, 0xffff                                 // 000000003F9C: 8619FF19 0000FFFF
	s_and_b32 s29, s29, 0xffff                                 // 000000003FA4: 861DFF1D 0000FFFF
	s_and_b32 s37, s37, 0xffff                                 // 000000003FAC: 8625FF25 0000FFFF
	s_and_b32 s41, s41, 0xffff                                 // 000000003FB4: 8629FF29 0000FFFF
	s_or_b32 s9, s9, 0x40000                                   // 000000003FBC: 8709FF09 00040000
	s_or_b32 s13, s13, 0x40000                                 // 000000003FC4: 870DFF0D 00040000
	s_or_b32 s17, s17, 0x40000                                 // 000000003FCC: 8711FF11 00040000
	s_or_b32 s21, s21, 0x40000                                 // 000000003FD4: 8715FF15 00040000
	s_or_b32 s25, s25, 0x40000                                 // 000000003FDC: 8719FF19 00040000
	s_or_b32 s29, s29, 0x40000                                 // 000000003FE4: 871DFF1D 00040000
	s_or_b32 s37, s37, 0x40000                                 // 000000003FEC: 8725FF25 00040000
	s_or_b32 s41, s41, 0x40000                                 // 000000003FF4: 8729FF29 00040000
	v_accvgpr_write_b32 a255, 0                                // 000000003FFC: D3D940FF 18000080
	v_mov_b32_e32 v251, 0                                      // 000000004004: 7FF60280
	s_mov_b32 s78, s8                                          // 000000004008: BECE0008
	s_mov_b32 s80, s12                                         // 00000000400C: BED0000C
	s_mov_b32 s82, s16                                         // 000000004010: BED20010
	s_mov_b32 s84, s20                                         // 000000004014: BED40014
	s_mov_b32 s79, s9                                          // 000000004018: BECF0009
	s_mov_b32 s81, s13                                         // 00000000401C: BED1000D
	s_mov_b32 s83, s17                                         // 000000004020: BED30011
	s_mov_b32 s85, s21                                         // 000000004024: BED50015
	s_mov_b32 s71, s3                                          // 000000004028: BEC70003
	v_cvt_f32_u32_e32 v28, s44                                 // 00000000402C: 7E380C2C
	s_sub_i32 s60, 0, s44                                      // 000000004030: 81BC2C80
	v_rcp_iflag_f32_e32 v28, v28                               // 000000004034: 7E38471C
	s_nop 0                                                    // 000000004038: BF800000
	v_mul_f32_e32 v28, 0x4f7ffffe, v28                         // 00000000403C: 0A3838FF 4F7FFFFE
	v_cvt_u32_f32_e32 v28, v28                                 // 000000004044: 7E380F1C
	v_mul_lo_u32 v29, s60, v28                                 // 000000004048: D285001D 0002383C
	v_mul_hi_u32 v29, v28, v29                                 // 000000004050: D286001D 00023B1C
	v_add_u32_e32 v28, v28, v29                                // 000000004058: 68383B1C
	v_mul_hi_u32 v28, s71, v28                                 // 00000000405C: D286001C 00023847
	v_mul_lo_u32 v29, v28, s44                                 // 000000004064: D285001D 0000591C
	v_sub_u32_e32 v31, s71, v29                                // 00000000406C: 6A3E3A47
	v_add_u32_e32 v30, 1, v28                                  // 000000004070: 683C3881
	v_cmp_le_u32_e32 vcc, s44, v31                             // 000000004074: 7D963E2C
	v_subrev_u32_e32 v29, s44, v31                             // 000000004078: 6C3A3E2C
	s_nop 0                                                    // 00000000407C: BF800000
	v_cndmask_b32_e32 v28, v28, v30, vcc                       // 000000004080: 00383D1C
	v_cndmask_b32_e32 v31, v31, v29, vcc                       // 000000004084: 003E3B1F
	v_add_u32_e32 v29, 1, v28                                  // 000000004088: 683A3881
	v_cmp_le_u32_e32 vcc, s44, v31                             // 00000000408C: 7D963E2C
	s_nop 1                                                    // 000000004090: BF800001
	v_cndmask_b32_e32 v31, v28, v29, vcc                       // 000000004094: 003E3B1C
	s_nop 3                                                    // 000000004098: BF800003
	v_readfirstlane_b32 s45, v31                               // 00000000409C: 7E5A051F
	s_nop 3                                                    // 0000000040A0: BF800003
	v_mov_b32_e32 v28, s48                                     // 0000000040A4: 7E380230
	v_mul_f32_e32 v28, s49, v28                                // 0000000040A8: 0A383831
	s_mov_b32 s66, 0                                           // 0000000040AC: BEC20080
	s_mov_b32 s58, s50                                         // 0000000040B0: BEBA0032
	s_mov_b32 s59, 0                                           // 0000000040B4: BEBB0080
	s_mov_b32 s63, 0x5040100                                   // 0000000040B8: BEBF00FF 05040100
	s_mov_b32 s64, 0x7060302                                   // 0000000040C0: BEC000FF 07060302
	v_readfirstlane_b32 s57, v28                               // 0000000040C8: 7E72051C
	v_mov_b32_e32 v30, 0x3020706                               // 0000000040CC: 7E3C02FF 03020706
	v_mov_b32_e32 v28, s63                                     // 0000000040D4: 7E38023F
	v_and_b32_e32 v29, 1, v0                                   // 0000000040D8: 263A0081
	v_cmp_eq_u32_e32 vcc, 1, v29                               // 0000000040DC: 7D943A81
	s_mul_i32 s67, 16, s70                                     // 0000000040E0: 92434690
	v_cndmask_b32_e32 v17, v28, v30, vcc                       // 0000000040E4: 00223D1C
	v_mov_b32_e32 v249, 0xffff0000                             // 0000000040E8: 7FF202FF FFFF0000
	v_mov_b32_e32 v250, 0x7fff0000                             // 0000000040F0: 7FF402FF 7FFF0000
	v_mov_b32_e32 v251, 0x7fff                                 // 0000000040F8: 7FF602FF 00007FFF
	s_cmp_lt_u32 s47, 2                                        // 000000004100: BF0A822F
	s_cselect_b32 s24, s24, s28                                // 000000004104: 85181C18
	s_cselect_b32 s25, s25, s29                                // 000000004108: 85191D19
	s_cselect_b32 s26, s26, s30                                // 00000000410C: 851A1E1A
	s_cselect_b32 s27, s27, s31                                // 000000004110: 851B1F1B
	s_lshr_b32 s60, s47, 1                                     // 000000004114: 8F3C812F
	s_lshl_b32 s60, s60, 8                                     // 000000004118: 8E3C883C
	s_add_u32 s76, 0xc600, s60                                 // 00000000411C: 804C3CFF 0000C600
	s_add_u32 s77, 0x200, s76                                  // 000000004124: 804D4CFF 00000200
	s_mov_b32 m0, s76                                          // 00000000412C: BEFC004C
	v_mov_b32_e32 v151, 0xff800000                             // 000000004130: 7F2E02FF FF800000
	s_mul_i32 s68, 16, s70                                     // 000000004138: 92444690
	s_mov_b32 s69, 16                                          // 00000000413C: BEC50090
	s_mul_i32 s60, s2, s51                                     // 000000004140: 923C3302
	s_mul_i32 s61, s45, s5                                     // 000000004144: 923D052D
	s_mul_i32 s62, s4, s6                                      // 000000004148: 923E0604
	s_add_u32 s54, s60, s61                                    // 00000000414C: 80363D3C
	s_add_u32 s54, s54, s62                                    // 000000004150: 80363E36
	s_mul_i32 s61, s3, s52                                     // 000000004154: 923D3403
	s_mul_i32 s62, s4, s53                                     // 000000004158: 923E3504
	s_add_u32 s55, s61, s62                                    // 00000000415C: 80373E3D
	s_mov_b32 s56, s55                                         // 000000004160: BEB80037
	s_mul_i32 s62, s4, s87                                     // 000000004164: 923E5704
	s_mul_i32 s62, s62, s86                                    // 000000004168: 923E563E
	s_mul_i32 s61, s3, s86                                     // 00000000416C: 923D5603
	s_add_u32 s65, s61, s62                                    // 000000004170: 80413E3D
	s_mov_b32 s71, s7                                          // 000000004174: BEC70007
	v_lshrrev_b32_e32 v28, 4, v0                               // 000000004178: 20380084
	v_and_b32_e32 v29, 1, v28                                  // 00000000417C: 263A3881
	v_lshlrev_b32_e32 v29, 1, v29                              // 000000004180: 243A3A81
	v_mul_i32_i24_e32 v29, s71, v29                            // 000000004184: 0C3A3A47
	v_and_b32_e32 v30, 2, v28                                  // 000000004188: 263C3882
	v_lshlrev_b32_e32 v30, 5, v30                              // 00000000418C: 243C3C85
	v_add_u32_e32 v29, v30, v29                                // 000000004190: 683A3B1E
	v_and_b32_e32 v28, 15, v0                                  // 000000004194: 2638008F
	v_lshlrev_b32_e32 v28, 2, v28                              // 000000004198: 24383882
	v_add_u32_e32 v1, v28, v29                                 // 00000000419C: 68023B1C
	s_and_b32 s60, 1, s47                                      // 0000000041A0: 863C2F81
	s_mul_i32 s60, s60, s71                                    // 0000000041A4: 923C473C
	s_mul_i32 s60, s60, 8                                      // 0000000041A8: 923C883C
	s_lshr_b32 s61, s47, 1                                     // 0000000041AC: 8F3D812F
	s_mul_i32 s61, s61, 0x80                                   // 0000000041B0: 923DFF3D 00000080
	s_add_u32 s60, s60, s61                                    // 0000000041B8: 803C3D3C
	v_add_u32_e32 v1, s60, v1                                  // 0000000041BC: 6802023C
	v_add_u32_e32 v2, s71, v1                                  // 0000000041C0: 68040247
	s_mul_i32 s60, 4, s71                                      // 0000000041C4: 923C4784
	v_add_u32_e32 v3, s60, v1                                  // 0000000041C8: 6806023C
	v_add_u32_e32 v4, s60, v2                                  // 0000000041CC: 6808043C
	v_lshrrev_b32_e32 v1, 2, v1                                // 0000000041D0: 20020282
	v_lshrrev_b32_e32 v2, 2, v2                                // 0000000041D4: 20040482
	v_lshrrev_b32_e32 v3, 2, v3                                // 0000000041D8: 20060682
	v_lshrrev_b32_e32 v4, 2, v4                                // 0000000041DC: 20080882
	s_add_u32 s12, s54, s80                                    // 0000000041E0: 800C5036
	s_addc_u32 s13, 0, s81                                     // 0000000041E4: 820D5180
	s_add_u32 s16, s54, s82                                    // 0000000041E8: 80105236
	s_addc_u32 s17, 0, s83                                     // 0000000041EC: 82115380
	s_add_u32 s8, s55, s78                                     // 0000000041F0: 80084E37
	s_addc_u32 s9, 0, s79                                      // 0000000041F4: 82094F80
	s_add_u32 s20, s56, s84                                    // 0000000041F8: 80145438
	s_addc_u32 s21, 0, s85                                     // 0000000041FC: 82155580
	v_and_b32_e32 v11, 15, v0                                  // 000000004200: 2616008F
	v_lshlrev_b32_e32 v11, 2, v11                              // 000000004204: 24161682
	v_add_u32_e32 v11, s65, v11                                // 000000004208: 68161641
	v_lshrrev_b32_e32 v11, 2, v11                              // 00000000420C: 20161682
	v_lshrrev_b32_e32 v28, 4, v0                               // 000000004210: 20380084
	v_mul_i32_i24_e32 v5, s46, v28                             // 000000004214: 0C0A382E
	v_lshrrev_b32_e32 v5, 2, v5                                // 000000004218: 200A0A82
	v_and_b32_e32 v28, 15, v0                                  // 00000000421C: 2638008F
	v_lshlrev_b32_e32 v29, 2, v28                              // 000000004220: 243A3882
	v_add_u32_e32 v5, v29, v5                                  // 000000004224: 680A0B1D
	s_mul_i32 s60, 16, s46                                     // 000000004228: 923C2E90
	s_mul_i32 s60, s47, s60                                    // 00000000422C: 923C3C2F
	v_lshlrev_b32_e32 v5, 2, v5                                // 000000004230: 240A0A82
	v_add_u32_e32 v5, s60, v5                                  // 000000004234: 680A0A3C
	s_mul_i32 s60, 0xc0, s46                                   // 000000004238: 923C2EFF 000000C0
	s_mul_i32 s60, s2, s60                                     // 000000004240: 923C3C02
	s_mul_i32 s61, s3, s5                                      // 000000004244: 923D0503
	s_mul_i32 s62, s4, s6                                      // 000000004248: 923E0604
	s_mul_i32 s62, s62, s44                                    // 00000000424C: 923E2C3E
	s_add_u32 s60, s60, s61                                    // 000000004250: 803C3D3C
	s_add_u32 s60, s60, s62                                    // 000000004254: 803C3E3C
	v_add_u32_e32 v5, s60, v5                                  // 000000004258: 680A0A3C
	v_lshrrev_b32_e32 v5, 2, v5                                // 00000000425C: 200A0A82
	v_mov_b32_e32 v10, v5                                      // 000000004260: 7E140305
	v_lshrrev_b32_e32 v28, 5, v0                               // 000000004264: 20380085
	v_mul_i32_i24_e32 v6, s70, v28                             // 000000004268: 0C0C3846
	v_lshrrev_b32_e32 v6, 2, v6                                // 00000000426C: 200C0C82
	v_and_b32_e32 v28, 31, v0                                  // 000000004270: 2638009F
	v_add_u32_e32 v6, v28, v6                                  // 000000004274: 680C0D1C
	s_mul_i32 s60, s47, s70                                    // 000000004278: 923C462F
	v_add_u32_e32 v6, s60, v6                                  // 00000000427C: 680C0C3C
	v_lshlrev_b32_e32 v6, 2, v6                                // 000000004280: 240C0C82
	s_mul_i32 s60, 2, s70                                      // 000000004284: 923C4682
	v_add_u32_e32 v7, s60, v6                                  // 000000004288: 680E0C3C
	s_mov_b32 s72, s55                                         // 00000000428C: BEC80037
	v_add_u32_e32 v6, s72, v6                                  // 000000004290: 680C0C48
	v_add_u32_e32 v8, s72, v7                                  // 000000004294: 68100E48
	v_mov_b32_e32 v7, 0                                        // 000000004298: 7E0E0280
	v_mov_b32_e32 v9, 0                                        // 00000000429C: 7E120280
	s_mul_i32 s60, 3, s2                                       // 0000000042A0: 923C0283
	s_lshr_b32 s61, s50, 6                                     // 0000000042A4: 8F3D8632
	s_sub_i32 s73, s61, s60                                    // 0000000042A8: 81C93C3D
	s_cmp_lt_i32 s73, 3                                        // 0000000042AC: BF048349
	s_cselect_b32 s73, s73, 3                                  // 0000000042B0: 85498349
	v_and_b32_e32 v28, 31, v0                                  // 0000000042B4: 2638009F
	v_lshrrev_b32_e32 v28, 1, v28                              // 0000000042B8: 20383881
	v_and_b32_e32 v29, 1, v28                                  // 0000000042BC: 263A3881
	v_lshlrev_b32_e32 v29, 4, v29                              // 0000000042C0: 243A3A84
	v_and_b32_e32 v30, 2, v28                                  // 0000000042C4: 263C3882
	v_lshlrev_b32_e32 v30, 2, v30                              // 0000000042C8: 243C3C82
	v_add_u32_e32 v29, v30, v29                                // 0000000042CC: 683A3B1E
	v_and_b32_e32 v30, 12, v28                                 // 0000000042D0: 263C388C
	v_lshrrev_b32_e32 v30, 1, v30                              // 0000000042D4: 203C3C81
	v_add_u32_e32 v29, v30, v29                                // 0000000042D8: 683A3B1E
	v_lshrrev_b32_e32 v28, 5, v0                               // 0000000042DC: 20380085
	v_mul_i32_i24_e32 v30, 0x80, v28                           // 0000000042E0: 0C3C38FF 00000080
	v_add_u32_e32 v29, v30, v29                                // 0000000042E8: 683A3B1E
	v_and_b32_e32 v30, 1, v0                                   // 0000000042EC: 263C0081
	v_add_u32_e32 v13, v30, v29                                // 0000000042F0: 681A3B1E
	s_and_b32 s60, 1, s47                                      // 0000000042F4: 863C2F81
	s_mul_i32 s60, s60, 64                                     // 0000000042F8: 923CC03C
	s_lshr_b32 s61, s47, 1                                     // 0000000042FC: 8F3D812F
	s_mul_i32 s61, s61, 0x220                                  // 000000004300: 923DFF3D 00000220
	s_add_u32 s60, s60, s61                                    // 000000004308: 803C3D3C
	v_add_u32_e32 v13, s60, v13                                // 00000000430C: 681A1A3C
	v_lshlrev_b32_e32 v13, 2, v13                              // 000000004310: 241A1A82
	v_lshrrev_b32_e32 v28, 4, v0                               // 000000004314: 20380084
	v_and_b32_e32 v29, 1, v28                                  // 000000004318: 263A3881
	v_lshlrev_b32_e32 v29, 4, v29                              // 00000000431C: 243A3A84
	v_and_b32_e32 v30, 2, v28                                  // 000000004320: 263C3882
	v_mul_i32_i24_e32 v30, 4, v30                              // 000000004324: 0C3C3C84
	v_add_u32_e32 v29, v30, v29                                // 000000004328: 683A3B1E
	v_and_b32_e32 v28, 15, v0                                  // 00000000432C: 2638008F
	v_lshrrev_b32_e32 v30, 2, v28                              // 000000004330: 203C3882
	v_lshlrev_b32_e32 v30, 5, v30                              // 000000004334: 243C3C85
	v_add_u32_e32 v29, v30, v29                                // 000000004338: 683A3B1E
	v_and_b32_e32 v28, 3, v0                                   // 00000000433C: 26380083
	v_and_b32_e32 v30, 1, v28                                  // 000000004340: 263C3881
	v_mul_i32_i24_e32 v30, 0x108, v30                          // 000000004344: 0C3C3CFF 00000108
	v_add_u32_e32 v29, v30, v29                                // 00000000434C: 683A3B1E
	v_and_b32_e32 v30, 2, v28                                  // 000000004350: 263C3882
	v_lshlrev_b32_e32 v30, 1, v30                              // 000000004354: 243C3C81
	v_add_u32_e32 v12, v30, v29                                // 000000004358: 68183B1E
	v_lshlrev_b32_e32 v12, 2, v12                              // 00000000435C: 24181882
	s_mul_i32 s60, s47, 0x1100                                 // 000000004360: 923CFF2F 00001100
	v_add_u32_e32 v24, s60, v12                                // 000000004368: 6830183C
	v_lshrrev_b32_e32 v28, 5, v0                               // 00000000436C: 20380085
	v_mul_i32_i24_e32 v15, 0x80, v28                           // 000000004370: 0C1E38FF 00000080
	v_and_b32_e32 v28, 31, v0                                  // 000000004378: 2638009F
	v_and_b32_e32 v29, 7, v28                                  // 00000000437C: 263A3887
	v_and_b32_e32 v30, 1, v29                                  // 000000004380: 263C3A81
	v_lshlrev_b32_e32 v30, 2, v30                              // 000000004384: 243C3C82
	v_add_u32_e32 v15, v30, v15                                // 000000004388: 681E1F1E
	v_and_b32_e32 v30, 2, v29                                  // 00000000438C: 263C3A82
	v_lshlrev_b32_e32 v30, 3, v30                              // 000000004390: 243C3C83
	v_add_u32_e32 v15, v30, v15                                // 000000004394: 681E1F1E
	v_and_b32_e32 v30, 4, v29                                  // 000000004398: 263C3A84
	v_lshlrev_b32_e32 v30, 1, v30                              // 00000000439C: 243C3C81
	v_add_u32_e32 v15, v30, v15                                // 0000000043A0: 681E1F1E
	v_lshrrev_b32_e32 v29, 3, v28                              // 0000000043A4: 203A3883
	v_and_b32_e32 v30, 1, v29                                  // 0000000043A8: 263C3A81
	v_lshlrev_b32_e32 v30, 1, v30                              // 0000000043AC: 243C3C81
	v_add_u32_e32 v15, v30, v15                                // 0000000043B0: 681E1F1E
	v_and_b32_e32 v30, 2, v29                                  // 0000000043B4: 263C3A82
	v_lshrrev_b32_e32 v30, 1, v30                              // 0000000043B8: 203C3C81
	v_add_u32_e32 v15, v30, v15                                // 0000000043BC: 681E1F1E
	s_and_b32 s60, 1, s47                                      // 0000000043C0: 863C2F81
	s_mul_i32 s60, s60, 64                                     // 0000000043C4: 923CC03C
	s_lshr_b32 s61, s47, 1                                     // 0000000043C8: 8F3D812F
	s_mul_i32 s61, s61, 0x220                                  // 0000000043CC: 923DFF3D 00000220
	s_add_u32 s60, s60, s61                                    // 0000000043D4: 803C3D3C
	v_add_u32_e32 v15, s60, v15                                // 0000000043D8: 681E1E3C
	v_lshlrev_b32_e32 v15, 2, v15                              // 0000000043DC: 241E1E82
	v_and_b32_e32 v28, 15, v0                                  // 0000000043E0: 2638008F
	v_and_b32_e32 v30, 1, v28                                  // 0000000043E4: 263C3881
	v_mul_i32_i24_e32 v14, 0x108, v30                          // 0000000043E8: 0C1C3CFF 00000108
	v_and_b32_e32 v30, 2, v28                                  // 0000000043F0: 263C3882
	v_lshlrev_b32_e32 v30, 1, v30                              // 0000000043F4: 243C3C81
	v_add_u32_e32 v14, v30, v14                                // 0000000043F8: 681C1D1E
	v_and_b32_e32 v30, 4, v28                                  // 0000000043FC: 263C3884
	v_lshlrev_b32_e32 v30, 2, v30                              // 000000004400: 243C3C82
	v_add_u32_e32 v14, v30, v14                                // 000000004404: 681C1D1E
	v_and_b32_e32 v30, 8, v28                                  // 000000004408: 263C3888
	v_add_u32_e32 v14, v30, v14                                // 00000000440C: 681C1D1E
	v_lshrrev_b32_e32 v28, 4, v0                               // 000000004410: 20380084
	v_and_b32_e32 v30, 1, v28                                  // 000000004414: 263C3881
	v_lshlrev_b32_e32 v30, 5, v30                              // 000000004418: 243C3C85
	v_add_u32_e32 v14, v30, v14                                // 00000000441C: 681C1D1E
	v_and_b32_e32 v29, 2, v28                                  // 000000004420: 263A3882
	v_mul_i32_i24_e32 v30, 32, v29                             // 000000004424: 0C3C3AA0
	v_mul_i32_i24_e32 v29, 0x220, v29                          // 000000004428: 0C3A3AFF 00000220
	v_add_u32_e32 v25, v29, v14                                // 000000004430: 68321D1D
	v_add_u32_e32 v14, v30, v14                                // 000000004434: 681C1D1E
	v_lshlrev_b32_e32 v14, 2, v14                              // 000000004438: 241C1C82
	v_lshlrev_b32_e32 v25, 2, v25                              // 00000000443C: 24323282
	s_and_b32 s60, 1, s47                                      // 000000004440: 863C2F81
	s_mul_i32 s60, s60, 0x200                                  // 000000004444: 923CFF3C 00000200
	s_lshr_b32 s61, s47, 1                                     // 00000000444C: 8F3D812F
	s_mul_i32 s61, s61, 0x880                                  // 000000004450: 923DFF3D 00000880
	s_add_u32 s60, s60, s61                                    // 000000004458: 803C3D3C
	v_add_u32_e32 v25, s60, v25                                // 00000000445C: 6832323C
	v_lshrrev_b32_e32 v28, 4, v0                               // 000000004460: 20380084
	v_mul_i32_i24_e32 v23, 4, v28                              // 000000004464: 0C2E3884
	v_and_b32_e32 v29, 3, v0                                   // 000000004468: 263A0083
	v_add_u32_e32 v23, v29, v23                                // 00000000446C: 682E2F1D
	v_lshlrev_b32_e32 v23, 2, v23                              // 000000004470: 242E2E82
	v_lshrrev_b32_e32 v28, 5, v0                               // 000000004474: 20380085
	v_mul_i32_i24_e32 v21, 2, v28                              // 000000004478: 0C2A3882
	v_and_b32_e32 v28, 31, v0                                  // 00000000447C: 2638009F
	v_lshrrev_b32_e32 v28, 1, v28                              // 000000004480: 20383881
	v_mul_i32_i24_e32 v29, 34, v28                             // 000000004484: 0C3A38A2
	v_add_u32_e32 v21, v29, v21                                // 000000004488: 682A2B1D
	v_and_b32_e32 v29, 1, v0                                   // 00000000448C: 263A0081
	v_add_u32_e32 v21, v29, v21                                // 000000004490: 682A2B1D
	s_mul_i32 s60, s47, 8                                      // 000000004494: 923C882F
	v_add_u32_e32 v21, s60, v21                                // 000000004498: 682A2A3C
	v_lshlrev_b32_e32 v21, 2, v21                              // 00000000449C: 242A2A82
	v_lshrrev_b32_e32 v28, 4, v0                               // 0000000044A0: 20380084
	v_mul_i32_i24_e32 v22, 34, v28                             // 0000000044A4: 0C2C38A2
	v_and_b32_e32 v28, 15, v0                                  // 0000000044A8: 2638008F
	v_mul_i32_i24_e32 v29, 2, v28                              // 0000000044AC: 0C3A3882
	v_add_u32_e32 v22, v29, v22                                // 0000000044B0: 682C2D1D
	s_mul_i32 s60, s47, 0x110                                  // 0000000044B4: 923CFF2F 00000110
	v_add_u32_e32 v22, s60, v22                                // 0000000044BC: 682C2C3C
	v_lshlrev_b32_e32 v22, 2, v22                              // 0000000044C0: 242C2C82
	v_lshrrev_b32_e32 v28, 5, v0                               // 0000000044C4: 20380085
	v_mul_i32_i24_e32 v19, 64, v28                             // 0000000044C8: 0C2638C0
	v_and_b32_e32 v28, 31, v0                                  // 0000000044CC: 2638009F
	v_and_b32_e32 v28, 3, v28                                  // 0000000044D0: 26383883
	v_and_b32_e32 v29, 1, v28                                  // 0000000044D4: 263A3881
	v_mul_i32_i24_e32 v29, 4, v29                              // 0000000044D8: 0C3A3A84
	v_add_u32_e32 v19, v29, v19                                // 0000000044DC: 6826271D
	v_and_b32_e32 v29, 2, v28                                  // 0000000044E0: 263A3882
	v_mul_i32_i24_e32 v29, 0x44, v29                           // 0000000044E4: 0C3A3AFF 00000044
	v_add_u32_e32 v19, v29, v19                                // 0000000044EC: 6826271D
	v_and_b32_e32 v28, 31, v0                                  // 0000000044F0: 2638009F
	v_lshrrev_b32_e32 v28, 2, v28                              // 0000000044F4: 20383882
	v_lshrrev_b32_e32 v30, 2, v28                              // 0000000044F8: 203C3882
	v_mul_i32_i24_e32 v29, 16, v30                             // 0000000044FC: 0C3A3C90
	v_add_u32_e32 v19, v29, v19                                // 000000004500: 6826271D
	v_and_b32_e32 v29, 2, v28                                  // 000000004504: 263A3882
	v_lshlrev_b32_e32 v29, 4, v29                              // 000000004508: 243A3A84
	v_add_u32_e32 v19, v29, v19                                // 00000000450C: 6826271D
	v_and_b32_e32 v29, 1, v28                                  // 000000004510: 263A3881
	v_xor_b32_e32 v29, v30, v29                                // 000000004514: 2A3A3B1E
	v_mul_i32_i24_e32 v29, 8, v29                              // 000000004518: 0C3A3A88
	v_add_u32_e32 v19, v29, v19                                // 00000000451C: 6826271D
	v_lshlrev_b32_e32 v19, 2, v19                              // 000000004520: 24262682
	v_lshrrev_b32_e32 v28, 5, v0                               // 000000004524: 20380085
	v_mul_i32_i24_e32 v20, 32, v28                             // 000000004528: 0C2838A0
	v_and_b32_e32 v28, 31, v0                                  // 00000000452C: 2638009F
	v_and_b32_e32 v28, 3, v28                                  // 000000004530: 26383883
	v_and_b32_e32 v29, 1, v28                                  // 000000004534: 263A3881
	v_mul_i32_i24_e32 v29, 4, v29                              // 000000004538: 0C3A3A84
	v_add_u32_e32 v20, v29, v20                                // 00000000453C: 6828291D
	v_and_b32_e32 v29, 2, v28                                  // 000000004540: 263A3882
	v_lshrrev_b32_e32 v29, 1, v29                              // 000000004544: 203A3A81
	v_add_u32_e32 v20, v29, v20                                // 000000004548: 6828291D
	v_and_b32_e32 v28, 31, v0                                  // 00000000454C: 2638009F
	v_lshrrev_b32_e32 v28, 2, v28                              // 000000004550: 20383882
	v_and_b32_e32 v30, 1, v28                                  // 000000004554: 263C3881
	v_mul_i32_i24_e32 v29, 16, v30                             // 000000004558: 0C3A3C90
	v_add_u32_e32 v20, v29, v20                                // 00000000455C: 6828291D
	v_and_b32_e32 v29, 2, v28                                  // 000000004560: 263A3882
	v_add_u32_e32 v20, v29, v20                                // 000000004564: 6828291D
	v_lshrrev_b32_e32 v29, 2, v28                              // 000000004568: 203A3882
	v_xor_b32_e32 v29, v30, v29                                // 00000000456C: 2A3A3B1E
	v_mul_i32_i24_e32 v29, 8, v29                              // 000000004570: 0C3A3A88
	v_add_u32_e32 v20, v29, v20                                // 000000004574: 6828291D
	s_and_b32 s60, 1, s47                                      // 000000004578: 863C2F81
	s_mul_i32 s60, s60, 64                                     // 00000000457C: 923CC03C
	s_lshr_b32 s61, s47, 1                                     // 000000004580: 8F3D812F
	s_mul_i32 s61, s61, 0x120                                  // 000000004584: 923DFF3D 00000120
	s_add_u32 s60, s60, s61                                    // 00000000458C: 803C3D3C
	v_add_u32_e32 v20, s60, v20                                // 000000004590: 6828283C
	v_lshlrev_b32_e32 v20, 2, v20                              // 000000004594: 24282882
	buffer_load_dword v152, v1, s[12:15], 0 idxen              // 000000004598: E0502000 80039801
	buffer_load_dword v153, v2, s[12:15], 0 idxen              // 0000000045A0: E0502000 80039902
	buffer_load_dword v154, v3, s[12:15], 0 idxen              // 0000000045A8: E0502000 80039A03
	buffer_load_dword v155, v4, s[12:15], 0 idxen              // 0000000045B0: E0502000 80039B04
	s_mul_i32 s60, 16, s7                                      // 0000000045B8: 923C0790
	s_cmp_lt_i32 0, s73                                        // 0000000045BC: BF044980
	s_cselect_b32 s60, s60, 0                                  // 0000000045C0: 853C803C
	s_add_u32 s12, s60, s12                                    // 0000000045C4: 800C0C3C
	s_addc_u32 s13, 0, s13                                     // 0000000045C8: 820D0D80
	buffer_load_dword v156, v1, s[12:15], 0 idxen              // 0000000045CC: E0502000 80039C01
	buffer_load_dword v157, v2, s[12:15], 0 idxen              // 0000000045D4: E0502000 80039D02
	buffer_load_dword v158, v3, s[12:15], 0 idxen              // 0000000045DC: E0502000 80039E03
	buffer_load_dword v159, v4, s[12:15], 0 idxen              // 0000000045E4: E0502000 80039F04
	s_mul_i32 s60, 16, s7                                      // 0000000045EC: 923C0790
	s_cmp_lt_i32 0, s73                                        // 0000000045F0: BF044980
	s_cselect_b32 s60, s60, 0                                  // 0000000045F4: 853C803C
	s_add_u32 s12, s60, s12                                    // 0000000045F8: 800C0C3C
	s_addc_u32 s13, 0, s13                                     // 0000000045FC: 820D0D80
	buffer_load_dword v160, v1, s[12:15], 0 idxen              // 000000004600: E0502000 8003A001
	buffer_load_dword v161, v2, s[12:15], 0 idxen              // 000000004608: E0502000 8003A102
	buffer_load_dword v162, v3, s[12:15], 0 idxen              // 000000004610: E0502000 8003A203
	buffer_load_dword v163, v4, s[12:15], 0 idxen              // 000000004618: E0502000 8003A304
	s_mul_i32 s60, 16, s7                                      // 000000004620: 923C0790
	s_cmp_lt_i32 0, s73                                        // 000000004624: BF044980
	s_cselect_b32 s60, s60, 0                                  // 000000004628: 853C803C
	s_add_u32 s12, s60, s12                                    // 00000000462C: 800C0C3C
	s_addc_u32 s13, 0, s13                                     // 000000004630: 820D0D80
	buffer_load_dword v164, v1, s[12:15], 0 idxen              // 000000004634: E0502000 8003A401
	buffer_load_dword v165, v2, s[12:15], 0 idxen              // 00000000463C: E0502000 8003A502
	buffer_load_dword v166, v3, s[12:15], 0 idxen              // 000000004644: E0502000 8003A603
	buffer_load_dword v167, v4, s[12:15], 0 idxen              // 00000000464C: E0502000 8003A704
	s_mul_i32 s60, 16, s7                                      // 000000004654: 923C0790
	s_cmp_lt_i32 1, s73                                        // 000000004658: BF044981
	s_cselect_b32 s60, s60, 0                                  // 00000000465C: 853C803C
	s_add_u32 s12, s60, s12                                    // 000000004660: 800C0C3C
	s_addc_u32 s13, 0, s13                                     // 000000004664: 820D0D80
	buffer_load_dword v168, v1, s[12:15], 0 idxen              // 000000004668: E0502000 8003A801
	buffer_load_dword v169, v2, s[12:15], 0 idxen              // 000000004670: E0502000 8003A902
	buffer_load_dword v170, v3, s[12:15], 0 idxen              // 000000004678: E0502000 8003AA03
	buffer_load_dword v171, v4, s[12:15], 0 idxen              // 000000004680: E0502000 8003AB04
	s_mul_i32 s60, 16, s7                                      // 000000004688: 923C0790
	s_cmp_lt_i32 1, s73                                        // 00000000468C: BF044981
	s_cselect_b32 s60, s60, 0                                  // 000000004690: 853C803C
	s_add_u32 s12, s60, s12                                    // 000000004694: 800C0C3C
	s_addc_u32 s13, 0, s13                                     // 000000004698: 820D0D80
	buffer_load_dword v172, v1, s[12:15], 0 idxen              // 00000000469C: E0502000 8003AC01
	buffer_load_dword v173, v2, s[12:15], 0 idxen              // 0000000046A4: E0502000 8003AD02
	buffer_load_dword v174, v3, s[12:15], 0 idxen              // 0000000046AC: E0502000 8003AE03
	buffer_load_dword v175, v4, s[12:15], 0 idxen              // 0000000046B4: E0502000 8003AF04
	s_mul_i32 s60, 16, s7                                      // 0000000046BC: 923C0790
	s_cmp_lt_i32 1, s73                                        // 0000000046C0: BF044981
	s_cselect_b32 s60, s60, 0                                  // 0000000046C4: 853C803C
	s_add_u32 s12, s60, s12                                    // 0000000046C8: 800C0C3C
	s_addc_u32 s13, 0, s13                                     // 0000000046CC: 820D0D80
	buffer_load_dword v176, v1, s[12:15], 0 idxen              // 0000000046D0: E0502000 8003B001
	buffer_load_dword v177, v2, s[12:15], 0 idxen              // 0000000046D8: E0502000 8003B102
	buffer_load_dword v178, v3, s[12:15], 0 idxen              // 0000000046E0: E0502000 8003B203
	buffer_load_dword v179, v4, s[12:15], 0 idxen              // 0000000046E8: E0502000 8003B304
	s_mul_i32 s60, 16, s7                                      // 0000000046F0: 923C0790
	s_cmp_lt_i32 1, s73                                        // 0000000046F4: BF044981
	s_cselect_b32 s60, s60, 0                                  // 0000000046F8: 853C803C
	s_add_u32 s12, s60, s12                                    // 0000000046FC: 800C0C3C
	s_addc_u32 s13, 0, s13                                     // 000000004700: 820D0D80
	buffer_load_dword v180, v1, s[12:15], 0 idxen              // 000000004704: E0502000 8003B401
	buffer_load_dword v181, v2, s[12:15], 0 idxen              // 00000000470C: E0502000 8003B502
	buffer_load_dword v182, v3, s[12:15], 0 idxen              // 000000004714: E0502000 8003B603
	buffer_load_dword v183, v4, s[12:15], 0 idxen              // 00000000471C: E0502000 8003B704
	s_mul_i32 s60, 16, s7                                      // 000000004724: 923C0790
	s_cmp_lt_i32 2, s73                                        // 000000004728: BF044982
	s_cselect_b32 s60, s60, 0                                  // 00000000472C: 853C803C
	s_add_u32 s12, s60, s12                                    // 000000004730: 800C0C3C
	s_addc_u32 s13, 0, s13                                     // 000000004734: 820D0D80
	buffer_load_dword v184, v1, s[12:15], 0 idxen              // 000000004738: E0502000 8003B801
	buffer_load_dword v185, v2, s[12:15], 0 idxen              // 000000004740: E0502000 8003B902
	buffer_load_dword v186, v3, s[12:15], 0 idxen              // 000000004748: E0502000 8003BA03
	buffer_load_dword v187, v4, s[12:15], 0 idxen              // 000000004750: E0502000 8003BB04
	s_mul_i32 s60, 16, s7                                      // 000000004758: 923C0790
	s_cmp_lt_i32 2, s73                                        // 00000000475C: BF044982
	s_cselect_b32 s60, s60, 0                                  // 000000004760: 853C803C
	s_add_u32 s12, s60, s12                                    // 000000004764: 800C0C3C
	s_addc_u32 s13, 0, s13                                     // 000000004768: 820D0D80
	buffer_load_dword v188, v1, s[12:15], 0 idxen              // 00000000476C: E0502000 8003BC01
	buffer_load_dword v189, v2, s[12:15], 0 idxen              // 000000004774: E0502000 8003BD02
	buffer_load_dword v190, v3, s[12:15], 0 idxen              // 00000000477C: E0502000 8003BE03
	buffer_load_dword v191, v4, s[12:15], 0 idxen              // 000000004784: E0502000 8003BF04
	s_mul_i32 s60, 16, s7                                      // 00000000478C: 923C0790
	s_cmp_lt_i32 2, s73                                        // 000000004790: BF044982
	s_cselect_b32 s60, s60, 0                                  // 000000004794: 853C803C
	s_add_u32 s12, s60, s12                                    // 000000004798: 800C0C3C
	s_addc_u32 s13, 0, s13                                     // 00000000479C: 820D0D80
	buffer_load_dword v192, v1, s[12:15], 0 idxen              // 0000000047A0: E0502000 8003C001
	buffer_load_dword v193, v2, s[12:15], 0 idxen              // 0000000047A8: E0502000 8003C102
	buffer_load_dword v194, v3, s[12:15], 0 idxen              // 0000000047B0: E0502000 8003C203
	buffer_load_dword v195, v4, s[12:15], 0 idxen              // 0000000047B8: E0502000 8003C304
	s_mul_i32 s60, 16, s7                                      // 0000000047C0: 923C0790
	s_cmp_lt_i32 2, s73                                        // 0000000047C4: BF044982
	s_cselect_b32 s60, s60, 0                                  // 0000000047C8: 853C803C
	s_add_u32 s12, s60, s12                                    // 0000000047CC: 800C0C3C
	s_addc_u32 s13, 0, s13                                     // 0000000047D0: 820D0D80
	buffer_load_dword v196, v1, s[12:15], 0 idxen              // 0000000047D4: E0502000 8003C401
	buffer_load_dword v197, v2, s[12:15], 0 idxen              // 0000000047DC: E0502000 8003C502
	buffer_load_dword v198, v3, s[12:15], 0 idxen              // 0000000047E4: E0502000 8003C603
	buffer_load_dword v199, v4, s[12:15], 0 idxen              // 0000000047EC: E0502000 8003C704
	s_mul_i32 s60, 16, s7                                      // 0000000047F4: 923C0790
	s_cmp_lt_i32 3, s73                                        // 0000000047F8: BF044983
	s_cselect_b32 s60, s60, 0                                  // 0000000047FC: 853C803C
	s_add_u32 s12, s60, s12                                    // 000000004800: 800C0C3C
	s_addc_u32 s13, 0, s13                                     // 000000004804: 820D0D80
	s_waitcnt vmcnt(32) lgkmcnt(0)                             // 000000004808: BF8C8070
	s_barrier                                                  // 00000000480C: BF8A0000
	s_cmp_lt_i32 0, s73                                        // 000000004810: BF044980
	s_cbranch_scc1 label_0296                                  // 000000004814: BF850010
	v_mov_b32_e32 v152, 0                                      // 000000004818: 7F300280
	v_mov_b32_e32 v153, 0                                      // 00000000481C: 7F320280
	v_mov_b32_e32 v154, 0                                      // 000000004820: 7F340280
	v_mov_b32_e32 v155, 0                                      // 000000004824: 7F360280
	v_mov_b32_e32 v156, 0                                      // 000000004828: 7F380280
	v_mov_b32_e32 v157, 0                                      // 00000000482C: 7F3A0280
	v_mov_b32_e32 v158, 0                                      // 000000004830: 7F3C0280
	v_mov_b32_e32 v159, 0                                      // 000000004834: 7F3E0280
	v_mov_b32_e32 v160, 0                                      // 000000004838: 7F400280
	v_mov_b32_e32 v161, 0                                      // 00000000483C: 7F420280
	v_mov_b32_e32 v162, 0                                      // 000000004840: 7F440280
	v_mov_b32_e32 v163, 0                                      // 000000004844: 7F460280
	v_mov_b32_e32 v164, 0                                      // 000000004848: 7F480280
	v_mov_b32_e32 v165, 0                                      // 00000000484C: 7F4A0280
	v_mov_b32_e32 v166, 0                                      // 000000004850: 7F4C0280
	v_mov_b32_e32 v167, 0                                      // 000000004854: 7F4E0280

0000000000004858 <label_0296>:
	v_perm_b32 v200, v153, v152, s63                           // 000000004858: D1ED00C8 00FF3199
	v_perm_b32 v201, v153, v152, s64                           // 000000004860: D1ED00C9 01033199
	v_perm_b32 v202, v155, v154, s63                           // 000000004868: D1ED00CA 00FF359B
	v_perm_b32 v203, v155, v154, s64                           // 000000004870: D1ED00CB 0103359B
	v_perm_b32 v204, v157, v156, s63                           // 000000004878: D1ED00CC 00FF399D
	v_perm_b32 v205, v157, v156, s64                           // 000000004880: D1ED00CD 0103399D
	v_perm_b32 v206, v159, v158, s63                           // 000000004888: D1ED00CE 00FF3D9F
	v_perm_b32 v207, v159, v158, s64                           // 000000004890: D1ED00CF 01033D9F
	v_perm_b32 v208, v161, v160, s63                           // 000000004898: D1ED00D0 00FF41A1
	v_perm_b32 v209, v161, v160, s64                           // 0000000048A0: D1ED00D1 010341A1
	v_perm_b32 v210, v163, v162, s63                           // 0000000048A8: D1ED00D2 00FF45A3
	v_perm_b32 v211, v163, v162, s64                           // 0000000048B0: D1ED00D3 010345A3
	v_perm_b32 v212, v165, v164, s63                           // 0000000048B8: D1ED00D4 00FF49A5
	v_perm_b32 v213, v165, v164, s64                           // 0000000048C0: D1ED00D5 010349A5
	v_perm_b32 v214, v167, v166, s63                           // 0000000048C8: D1ED00D6 00FF4DA7
	v_perm_b32 v215, v167, v166, s64                           // 0000000048D0: D1ED00D7 01034DA7
	ds_write_b32 v15, v200 offset:17408                        // 0000000048D8: D81A4400 0000C80F
	ds_write_b32 v15, v201 offset:18464                        // 0000000048E0: D81A4820 0000C90F
	ds_write_b32 v15, v202 offset:17536                        // 0000000048E8: D81A4480 0000CA0F
	ds_write_b32 v15, v203 offset:18592                        // 0000000048F0: D81A48A0 0000CB0F
	ds_write_b32 v15, v204 offset:21760                        // 0000000048F8: D81A5500 0000CC0F
	ds_write_b32 v15, v205 offset:22816                        // 000000004900: D81A5920 0000CD0F
	ds_write_b32 v15, v206 offset:21888                        // 000000004908: D81A5580 0000CE0F
	ds_write_b32 v15, v207 offset:22944                        // 000000004910: D81A59A0 0000CF0F
	ds_write_b32 v15, v208 offset:26112                        // 000000004918: D81A6600 0000D00F
	ds_write_b32 v15, v209 offset:27168                        // 000000004920: D81A6A20 0000D10F
	ds_write_b32 v15, v210 offset:26240                        // 000000004928: D81A6680 0000D20F
	ds_write_b32 v15, v211 offset:27296                        // 000000004930: D81A6AA0 0000D30F
	ds_write_b32 v15, v212 offset:30464                        // 000000004938: D81A7700 0000D40F
	ds_write_b32 v15, v213 offset:31520                        // 000000004940: D81A7B20 0000D50F
	ds_write_b32 v15, v214 offset:30592                        // 000000004948: D81A7780 0000D60F
	ds_write_b32 v15, v215 offset:31648                        // 000000004950: D81A7BA0 0000D70F
	ds_write_b32 v13, v152                                     // 000000004958: D81A0000 0000980D
	ds_write_b32 v13, v153 offset:1056                         // 000000004960: D81A0420 0000990D
	ds_write_b32 v13, v154 offset:128                          // 000000004968: D81A0080 00009A0D
	ds_write_b32 v13, v155 offset:1184                         // 000000004970: D81A04A0 00009B0D
	ds_write_b32 v13, v156 offset:4352                         // 000000004978: D81A1100 00009C0D
	ds_write_b32 v13, v157 offset:5408                         // 000000004980: D81A1520 00009D0D
	ds_write_b32 v13, v158 offset:4480                         // 000000004988: D81A1180 00009E0D
	ds_write_b32 v13, v159 offset:5536                         // 000000004990: D81A15A0 00009F0D
	ds_write_b32 v13, v160 offset:8704                         // 000000004998: D81A2200 0000A00D
	ds_write_b32 v13, v161 offset:9760                         // 0000000049A0: D81A2620 0000A10D
	ds_write_b32 v13, v162 offset:8832                         // 0000000049A8: D81A2280 0000A20D
	ds_write_b32 v13, v163 offset:9888                         // 0000000049B0: D81A26A0 0000A30D
	ds_write_b32 v13, v164 offset:13056                        // 0000000049B8: D81A3300 0000A40D
	ds_write_b32 v13, v165 offset:14112                        // 0000000049C0: D81A3720 0000A50D
	ds_write_b32 v13, v166 offset:13184                        // 0000000049C8: D81A3380 0000A60D
	ds_write_b32 v13, v167 offset:14240                        // 0000000049D0: D81A37A0 0000A70D
	buffer_load_dword v152, v1, s[16:19], 0 idxen              // 0000000049D8: E0502000 80049801
	buffer_load_dword v153, v2, s[16:19], 0 idxen              // 0000000049E0: E0502000 80049902
	buffer_load_dword v154, v3, s[16:19], 0 idxen              // 0000000049E8: E0502000 80049A03
	buffer_load_dword v155, v4, s[16:19], 0 idxen              // 0000000049F0: E0502000 80049B04
	s_mul_i32 s60, 16, s7                                      // 0000000049F8: 923C0790
	s_cmp_lt_i32 0, s73                                        // 0000000049FC: BF044980
	s_cselect_b32 s60, s60, 0                                  // 000000004A00: 853C803C
	s_add_u32 s16, s60, s16                                    // 000000004A04: 8010103C
	s_addc_u32 s17, 0, s17                                     // 000000004A08: 82111180
	buffer_load_dword v156, v1, s[16:19], 0 idxen              // 000000004A0C: E0502000 80049C01
	buffer_load_dword v157, v2, s[16:19], 0 idxen              // 000000004A14: E0502000 80049D02
	buffer_load_dword v158, v3, s[16:19], 0 idxen              // 000000004A1C: E0502000 80049E03
	buffer_load_dword v159, v4, s[16:19], 0 idxen              // 000000004A24: E0502000 80049F04
	s_mul_i32 s60, 16, s7                                      // 000000004A2C: 923C0790
	s_cmp_lt_i32 0, s73                                        // 000000004A30: BF044980
	s_cselect_b32 s60, s60, 0                                  // 000000004A34: 853C803C
	s_add_u32 s16, s60, s16                                    // 000000004A38: 8010103C
	s_addc_u32 s17, 0, s17                                     // 000000004A3C: 82111180
	buffer_load_dword v160, v1, s[16:19], 0 idxen              // 000000004A40: E0502000 8004A001
	buffer_load_dword v161, v2, s[16:19], 0 idxen              // 000000004A48: E0502000 8004A102
	buffer_load_dword v162, v3, s[16:19], 0 idxen              // 000000004A50: E0502000 8004A203
	buffer_load_dword v163, v4, s[16:19], 0 idxen              // 000000004A58: E0502000 8004A304
	s_mul_i32 s60, 16, s7                                      // 000000004A60: 923C0790
	s_cmp_lt_i32 0, s73                                        // 000000004A64: BF044980
	s_cselect_b32 s60, s60, 0                                  // 000000004A68: 853C803C
	s_add_u32 s16, s60, s16                                    // 000000004A6C: 8010103C
	s_addc_u32 s17, 0, s17                                     // 000000004A70: 82111180
	buffer_load_dword v164, v1, s[16:19], 0 idxen              // 000000004A74: E0502000 8004A401
	buffer_load_dword v165, v2, s[16:19], 0 idxen              // 000000004A7C: E0502000 8004A502
	buffer_load_dword v166, v3, s[16:19], 0 idxen              // 000000004A84: E0502000 8004A603
	buffer_load_dword v167, v4, s[16:19], 0 idxen              // 000000004A8C: E0502000 8004A704
	s_mul_i32 s60, 16, s7                                      // 000000004A94: 923C0790
	s_cmp_lt_i32 1, s73                                        // 000000004A98: BF044981
	s_cselect_b32 s60, s60, 0                                  // 000000004A9C: 853C803C
	s_add_u32 s16, s60, s16                                    // 000000004AA0: 8010103C
	s_addc_u32 s17, 0, s17                                     // 000000004AA4: 82111180
	s_waitcnt lgkmcnt(0)                                       // 000000004AA8: BF8CC07F
	s_barrier                                                  // 000000004AAC: BF8A0000
	ds_read_b128 a[48:51], v25 offset:17408                    // 000000004AB0: DBFE4400 30000019
	ds_read_b128 a[52:55], v25 offset:17664                    // 000000004AB8: DBFE4500 34000019
	ds_read_b128 a[56:59], v25 offset:26112                    // 000000004AC0: DBFE6600 38000019
	ds_read_b128 a[60:63], v25 offset:26368                    // 000000004AC8: DBFE6700 3C000019
	ds_read_b128 a[0:3], v24                                   // 000000004AD0: DBFE0000 00000018
	ds_read_b128 a[4:7], v24 offset:512                        // 000000004AD8: DBFE0200 04000018
	ds_read_b128 a[8:11], v24 offset:2176                      // 000000004AE0: DBFE0880 08000018
	ds_read_b128 a[12:15], v24 offset:2688                     // 000000004AE8: DBFE0A80 0C000018
	s_waitcnt vmcnt(32) lgkmcnt(0)                             // 000000004AF0: BF8C8070
	s_barrier                                                  // 000000004AF4: BF8A0000
	s_cmp_lt_i32 1, s73                                        // 000000004AF8: BF044981
	s_cbranch_scc1 label_0350                                  // 000000004AFC: BF850010
	v_mov_b32_e32 v168, 0                                      // 000000004B00: 7F500280
	v_mov_b32_e32 v169, 0                                      // 000000004B04: 7F520280
	v_mov_b32_e32 v170, 0                                      // 000000004B08: 7F540280
	v_mov_b32_e32 v171, 0                                      // 000000004B0C: 7F560280
	v_mov_b32_e32 v172, 0                                      // 000000004B10: 7F580280
	v_mov_b32_e32 v173, 0                                      // 000000004B14: 7F5A0280
	v_mov_b32_e32 v174, 0                                      // 000000004B18: 7F5C0280
	v_mov_b32_e32 v175, 0                                      // 000000004B1C: 7F5E0280
	v_mov_b32_e32 v176, 0                                      // 000000004B20: 7F600280
	v_mov_b32_e32 v177, 0                                      // 000000004B24: 7F620280
	v_mov_b32_e32 v178, 0                                      // 000000004B28: 7F640280
	v_mov_b32_e32 v179, 0                                      // 000000004B2C: 7F660280
	v_mov_b32_e32 v180, 0                                      // 000000004B30: 7F680280
	v_mov_b32_e32 v181, 0                                      // 000000004B34: 7F6A0280
	v_mov_b32_e32 v182, 0                                      // 000000004B38: 7F6C0280
	v_mov_b32_e32 v183, 0                                      // 000000004B3C: 7F6E0280

0000000000004b40 <label_0350>:
	v_perm_b32 v200, v169, v168, s63                           // 000000004B40: D1ED00C8 00FF51A9
	v_perm_b32 v201, v169, v168, s64                           // 000000004B48: D1ED00C9 010351A9
	v_perm_b32 v202, v171, v170, s63                           // 000000004B50: D1ED00CA 00FF55AB
	v_perm_b32 v203, v171, v170, s64                           // 000000004B58: D1ED00CB 010355AB
	v_perm_b32 v204, v173, v172, s63                           // 000000004B60: D1ED00CC 00FF59AD
	v_perm_b32 v205, v173, v172, s64                           // 000000004B68: D1ED00CD 010359AD
	v_perm_b32 v206, v175, v174, s63                           // 000000004B70: D1ED00CE 00FF5DAF
	v_perm_b32 v207, v175, v174, s64                           // 000000004B78: D1ED00CF 01035DAF
	v_perm_b32 v208, v177, v176, s63                           // 000000004B80: D1ED00D0 00FF61B1
	v_perm_b32 v209, v177, v176, s64                           // 000000004B88: D1ED00D1 010361B1
	v_perm_b32 v210, v179, v178, s63                           // 000000004B90: D1ED00D2 00FF65B3
	v_perm_b32 v211, v179, v178, s64                           // 000000004B98: D1ED00D3 010365B3
	v_perm_b32 v212, v181, v180, s63                           // 000000004BA0: D1ED00D4 00FF69B5
	v_perm_b32 v213, v181, v180, s64                           // 000000004BA8: D1ED00D5 010369B5
	v_perm_b32 v214, v183, v182, s63                           // 000000004BB0: D1ED00D6 00FF6DB7
	v_perm_b32 v215, v183, v182, s64                           // 000000004BB8: D1ED00D7 01036DB7
	ds_write_b32 v15, v200 offset:17408                        // 000000004BC0: D81A4400 0000C80F
	ds_write_b32 v15, v201 offset:18464                        // 000000004BC8: D81A4820 0000C90F
	ds_write_b32 v15, v202 offset:17536                        // 000000004BD0: D81A4480 0000CA0F
	ds_write_b32 v15, v203 offset:18592                        // 000000004BD8: D81A48A0 0000CB0F
	ds_write_b32 v15, v204 offset:21760                        // 000000004BE0: D81A5500 0000CC0F
	ds_write_b32 v15, v205 offset:22816                        // 000000004BE8: D81A5920 0000CD0F
	ds_write_b32 v15, v206 offset:21888                        // 000000004BF0: D81A5580 0000CE0F
	ds_write_b32 v15, v207 offset:22944                        // 000000004BF8: D81A59A0 0000CF0F
	ds_write_b32 v15, v208 offset:26112                        // 000000004C00: D81A6600 0000D00F
	ds_write_b32 v15, v209 offset:27168                        // 000000004C08: D81A6A20 0000D10F
	ds_write_b32 v15, v210 offset:26240                        // 000000004C10: D81A6680 0000D20F
	ds_write_b32 v15, v211 offset:27296                        // 000000004C18: D81A6AA0 0000D30F
	ds_write_b32 v15, v212 offset:30464                        // 000000004C20: D81A7700 0000D40F
	ds_write_b32 v15, v213 offset:31520                        // 000000004C28: D81A7B20 0000D50F
	ds_write_b32 v15, v214 offset:30592                        // 000000004C30: D81A7780 0000D60F
	ds_write_b32 v15, v215 offset:31648                        // 000000004C38: D81A7BA0 0000D70F
	ds_write_b32 v13, v168                                     // 000000004C40: D81A0000 0000A80D
	ds_write_b32 v13, v169 offset:1056                         // 000000004C48: D81A0420 0000A90D
	ds_write_b32 v13, v170 offset:128                          // 000000004C50: D81A0080 0000AA0D
	ds_write_b32 v13, v171 offset:1184                         // 000000004C58: D81A04A0 0000AB0D
	ds_write_b32 v13, v172 offset:4352                         // 000000004C60: D81A1100 0000AC0D
	ds_write_b32 v13, v173 offset:5408                         // 000000004C68: D81A1520 0000AD0D
	ds_write_b32 v13, v174 offset:4480                         // 000000004C70: D81A1180 0000AE0D
	ds_write_b32 v13, v175 offset:5536                         // 000000004C78: D81A15A0 0000AF0D
	ds_write_b32 v13, v176 offset:8704                         // 000000004C80: D81A2200 0000B00D
	ds_write_b32 v13, v177 offset:9760                         // 000000004C88: D81A2620 0000B10D
	ds_write_b32 v13, v178 offset:8832                         // 000000004C90: D81A2280 0000B20D
	ds_write_b32 v13, v179 offset:9888                         // 000000004C98: D81A26A0 0000B30D
	ds_write_b32 v13, v180 offset:13056                        // 000000004CA0: D81A3300 0000B40D
	ds_write_b32 v13, v181 offset:14112                        // 000000004CA8: D81A3720 0000B50D
	ds_write_b32 v13, v182 offset:13184                        // 000000004CB0: D81A3380 0000B60D
	ds_write_b32 v13, v183 offset:14240                        // 000000004CB8: D81A37A0 0000B70D
	buffer_load_dword v168, v1, s[16:19], 0 idxen              // 000000004CC0: E0502000 8004A801
	buffer_load_dword v169, v2, s[16:19], 0 idxen              // 000000004CC8: E0502000 8004A902
	buffer_load_dword v170, v3, s[16:19], 0 idxen              // 000000004CD0: E0502000 8004AA03
	buffer_load_dword v171, v4, s[16:19], 0 idxen              // 000000004CD8: E0502000 8004AB04
	s_mul_i32 s60, 16, s7                                      // 000000004CE0: 923C0790
	s_cmp_lt_i32 1, s73                                        // 000000004CE4: BF044981
	s_cselect_b32 s60, s60, 0                                  // 000000004CE8: 853C803C
	s_add_u32 s16, s60, s16                                    // 000000004CEC: 8010103C
	s_addc_u32 s17, 0, s17                                     // 000000004CF0: 82111180
	buffer_load_dword v172, v1, s[16:19], 0 idxen              // 000000004CF4: E0502000 8004AC01
	buffer_load_dword v173, v2, s[16:19], 0 idxen              // 000000004CFC: E0502000 8004AD02
	buffer_load_dword v174, v3, s[16:19], 0 idxen              // 000000004D04: E0502000 8004AE03
	buffer_load_dword v175, v4, s[16:19], 0 idxen              // 000000004D0C: E0502000 8004AF04
	s_mul_i32 s60, 16, s7                                      // 000000004D14: 923C0790
	s_cmp_lt_i32 1, s73                                        // 000000004D18: BF044981
	s_cselect_b32 s60, s60, 0                                  // 000000004D1C: 853C803C
	s_add_u32 s16, s60, s16                                    // 000000004D20: 8010103C
	s_addc_u32 s17, 0, s17                                     // 000000004D24: 82111180
	buffer_load_dword v176, v1, s[16:19], 0 idxen              // 000000004D28: E0502000 8004B001
	buffer_load_dword v177, v2, s[16:19], 0 idxen              // 000000004D30: E0502000 8004B102
	buffer_load_dword v178, v3, s[16:19], 0 idxen              // 000000004D38: E0502000 8004B203
	buffer_load_dword v179, v4, s[16:19], 0 idxen              // 000000004D40: E0502000 8004B304
	s_mul_i32 s60, 16, s7                                      // 000000004D48: 923C0790
	s_cmp_lt_i32 1, s73                                        // 000000004D4C: BF044981
	s_cselect_b32 s60, s60, 0                                  // 000000004D50: 853C803C
	s_add_u32 s16, s60, s16                                    // 000000004D54: 8010103C
	s_addc_u32 s17, 0, s17                                     // 000000004D58: 82111180
	buffer_load_dword v180, v1, s[16:19], 0 idxen              // 000000004D5C: E0502000 8004B401
	buffer_load_dword v181, v2, s[16:19], 0 idxen              // 000000004D64: E0502000 8004B502
	buffer_load_dword v182, v3, s[16:19], 0 idxen              // 000000004D6C: E0502000 8004B603
	buffer_load_dword v183, v4, s[16:19], 0 idxen              // 000000004D74: E0502000 8004B704
	s_mul_i32 s60, 16, s7                                      // 000000004D7C: 923C0790
	s_cmp_lt_i32 2, s73                                        // 000000004D80: BF044982
	s_cselect_b32 s60, s60, 0                                  // 000000004D84: 853C803C
	s_add_u32 s16, s60, s16                                    // 000000004D88: 8010103C
	s_addc_u32 s17, 0, s17                                     // 000000004D8C: 82111180
	s_waitcnt lgkmcnt(0)                                       // 000000004D90: BF8CC07F
	s_barrier                                                  // 000000004D94: BF8A0000
	ds_read_b128 a[64:67], v25 offset:17408                    // 000000004D98: DBFE4400 40000019
	ds_read_b128 a[68:71], v25 offset:17664                    // 000000004DA0: DBFE4500 44000019
	ds_read_b128 a[72:75], v25 offset:26112                    // 000000004DA8: DBFE6600 48000019
	ds_read_b128 a[76:79], v25 offset:26368                    // 000000004DB0: DBFE6700 4C000019
	ds_read_b128 a[16:19], v24                                 // 000000004DB8: DBFE0000 10000018
	ds_read_b128 a[20:23], v24 offset:512                      // 000000004DC0: DBFE0200 14000018
	ds_read_b128 a[24:27], v24 offset:2176                     // 000000004DC8: DBFE0880 18000018
	ds_read_b128 a[28:31], v24 offset:2688                     // 000000004DD0: DBFE0A80 1C000018
	s_waitcnt vmcnt(32) lgkmcnt(0)                             // 000000004DD8: BF8C8070
	s_barrier                                                  // 000000004DDC: BF8A0000
	s_cmp_lt_i32 2, s73                                        // 000000004DE0: BF044982
	s_cbranch_scc1 label_040A                                  // 000000004DE4: BF850010
	v_mov_b32_e32 v184, 0                                      // 000000004DE8: 7F700280
	v_mov_b32_e32 v185, 0                                      // 000000004DEC: 7F720280
	v_mov_b32_e32 v186, 0                                      // 000000004DF0: 7F740280
	v_mov_b32_e32 v187, 0                                      // 000000004DF4: 7F760280
	v_mov_b32_e32 v188, 0                                      // 000000004DF8: 7F780280
	v_mov_b32_e32 v189, 0                                      // 000000004DFC: 7F7A0280
	v_mov_b32_e32 v190, 0                                      // 000000004E00: 7F7C0280
	v_mov_b32_e32 v191, 0                                      // 000000004E04: 7F7E0280
	v_mov_b32_e32 v192, 0                                      // 000000004E08: 7F800280
	v_mov_b32_e32 v193, 0                                      // 000000004E0C: 7F820280
	v_mov_b32_e32 v194, 0                                      // 000000004E10: 7F840280
	v_mov_b32_e32 v195, 0                                      // 000000004E14: 7F860280
	v_mov_b32_e32 v196, 0                                      // 000000004E18: 7F880280
	v_mov_b32_e32 v197, 0                                      // 000000004E1C: 7F8A0280
	v_mov_b32_e32 v198, 0                                      // 000000004E20: 7F8C0280
	v_mov_b32_e32 v199, 0                                      // 000000004E24: 7F8E0280

0000000000004e28 <label_040A>:
	v_perm_b32 v200, v185, v184, s63                           // 000000004E28: D1ED00C8 00FF71B9
	v_perm_b32 v201, v185, v184, s64                           // 000000004E30: D1ED00C9 010371B9
	v_perm_b32 v202, v187, v186, s63                           // 000000004E38: D1ED00CA 00FF75BB
	v_perm_b32 v203, v187, v186, s64                           // 000000004E40: D1ED00CB 010375BB
	v_perm_b32 v204, v189, v188, s63                           // 000000004E48: D1ED00CC 00FF79BD
	v_perm_b32 v205, v189, v188, s64                           // 000000004E50: D1ED00CD 010379BD
	v_perm_b32 v206, v191, v190, s63                           // 000000004E58: D1ED00CE 00FF7DBF
	v_perm_b32 v207, v191, v190, s64                           // 000000004E60: D1ED00CF 01037DBF
	v_perm_b32 v208, v193, v192, s63                           // 000000004E68: D1ED00D0 00FF81C1
	v_perm_b32 v209, v193, v192, s64                           // 000000004E70: D1ED00D1 010381C1
	v_perm_b32 v210, v195, v194, s63                           // 000000004E78: D1ED00D2 00FF85C3
	v_perm_b32 v211, v195, v194, s64                           // 000000004E80: D1ED00D3 010385C3
	v_perm_b32 v212, v197, v196, s63                           // 000000004E88: D1ED00D4 00FF89C5
	v_perm_b32 v213, v197, v196, s64                           // 000000004E90: D1ED00D5 010389C5
	v_perm_b32 v214, v199, v198, s63                           // 000000004E98: D1ED00D6 00FF8DC7
	v_perm_b32 v215, v199, v198, s64                           // 000000004EA0: D1ED00D7 01038DC7
	ds_write_b32 v15, v200 offset:17408                        // 000000004EA8: D81A4400 0000C80F
	ds_write_b32 v15, v201 offset:18464                        // 000000004EB0: D81A4820 0000C90F
	ds_write_b32 v15, v202 offset:17536                        // 000000004EB8: D81A4480 0000CA0F
	ds_write_b32 v15, v203 offset:18592                        // 000000004EC0: D81A48A0 0000CB0F
	ds_write_b32 v15, v204 offset:21760                        // 000000004EC8: D81A5500 0000CC0F
	ds_write_b32 v15, v205 offset:22816                        // 000000004ED0: D81A5920 0000CD0F
	ds_write_b32 v15, v206 offset:21888                        // 000000004ED8: D81A5580 0000CE0F
	ds_write_b32 v15, v207 offset:22944                        // 000000004EE0: D81A59A0 0000CF0F
	ds_write_b32 v15, v208 offset:26112                        // 000000004EE8: D81A6600 0000D00F
	ds_write_b32 v15, v209 offset:27168                        // 000000004EF0: D81A6A20 0000D10F
	ds_write_b32 v15, v210 offset:26240                        // 000000004EF8: D81A6680 0000D20F
	ds_write_b32 v15, v211 offset:27296                        // 000000004F00: D81A6AA0 0000D30F
	ds_write_b32 v15, v212 offset:30464                        // 000000004F08: D81A7700 0000D40F
	ds_write_b32 v15, v213 offset:31520                        // 000000004F10: D81A7B20 0000D50F
	ds_write_b32 v15, v214 offset:30592                        // 000000004F18: D81A7780 0000D60F
	ds_write_b32 v15, v215 offset:31648                        // 000000004F20: D81A7BA0 0000D70F
	ds_write_b32 v13, v184                                     // 000000004F28: D81A0000 0000B80D
	ds_write_b32 v13, v185 offset:1056                         // 000000004F30: D81A0420 0000B90D
	ds_write_b32 v13, v186 offset:128                          // 000000004F38: D81A0080 0000BA0D
	ds_write_b32 v13, v187 offset:1184                         // 000000004F40: D81A04A0 0000BB0D
	ds_write_b32 v13, v188 offset:4352                         // 000000004F48: D81A1100 0000BC0D
	ds_write_b32 v13, v189 offset:5408                         // 000000004F50: D81A1520 0000BD0D
	ds_write_b32 v13, v190 offset:4480                         // 000000004F58: D81A1180 0000BE0D
	ds_write_b32 v13, v191 offset:5536                         // 000000004F60: D81A15A0 0000BF0D
	ds_write_b32 v13, v192 offset:8704                         // 000000004F68: D81A2200 0000C00D
	ds_write_b32 v13, v193 offset:9760                         // 000000004F70: D81A2620 0000C10D
	ds_write_b32 v13, v194 offset:8832                         // 000000004F78: D81A2280 0000C20D
	ds_write_b32 v13, v195 offset:9888                         // 000000004F80: D81A26A0 0000C30D
	ds_write_b32 v13, v196 offset:13056                        // 000000004F88: D81A3300 0000C40D
	ds_write_b32 v13, v197 offset:14112                        // 000000004F90: D81A3720 0000C50D
	ds_write_b32 v13, v198 offset:13184                        // 000000004F98: D81A3380 0000C60D
	ds_write_b32 v13, v199 offset:14240                        // 000000004FA0: D81A37A0 0000C70D
	buffer_load_dword v184, v1, s[16:19], 0 idxen              // 000000004FA8: E0502000 8004B801
	buffer_load_dword v185, v2, s[16:19], 0 idxen              // 000000004FB0: E0502000 8004B902
	buffer_load_dword v186, v3, s[16:19], 0 idxen              // 000000004FB8: E0502000 8004BA03
	buffer_load_dword v187, v4, s[16:19], 0 idxen              // 000000004FC0: E0502000 8004BB04
	s_mul_i32 s60, 16, s7                                      // 000000004FC8: 923C0790
	s_cmp_lt_i32 2, s73                                        // 000000004FCC: BF044982
	s_cselect_b32 s60, s60, 0                                  // 000000004FD0: 853C803C
	s_add_u32 s16, s60, s16                                    // 000000004FD4: 8010103C
	s_addc_u32 s17, 0, s17                                     // 000000004FD8: 82111180
	buffer_load_dword v188, v1, s[16:19], 0 idxen              // 000000004FDC: E0502000 8004BC01
	buffer_load_dword v189, v2, s[16:19], 0 idxen              // 000000004FE4: E0502000 8004BD02
	buffer_load_dword v190, v3, s[16:19], 0 idxen              // 000000004FEC: E0502000 8004BE03
	buffer_load_dword v191, v4, s[16:19], 0 idxen              // 000000004FF4: E0502000 8004BF04
	s_mul_i32 s60, 16, s7                                      // 000000004FFC: 923C0790
	s_cmp_lt_i32 2, s73                                        // 000000005000: BF044982
	s_cselect_b32 s60, s60, 0                                  // 000000005004: 853C803C
	s_add_u32 s16, s60, s16                                    // 000000005008: 8010103C
	s_addc_u32 s17, 0, s17                                     // 00000000500C: 82111180
	buffer_load_dword v192, v1, s[16:19], 0 idxen              // 000000005010: E0502000 8004C001
	buffer_load_dword v193, v2, s[16:19], 0 idxen              // 000000005018: E0502000 8004C102
	buffer_load_dword v194, v3, s[16:19], 0 idxen              // 000000005020: E0502000 8004C203
	buffer_load_dword v195, v4, s[16:19], 0 idxen              // 000000005028: E0502000 8004C304
	s_mul_i32 s60, 16, s7                                      // 000000005030: 923C0790
	s_cmp_lt_i32 2, s73                                        // 000000005034: BF044982
	s_cselect_b32 s60, s60, 0                                  // 000000005038: 853C803C
	s_add_u32 s16, s60, s16                                    // 00000000503C: 8010103C
	s_addc_u32 s17, 0, s17                                     // 000000005040: 82111180
	buffer_load_dword v196, v1, s[16:19], 0 idxen              // 000000005044: E0502000 8004C401
	buffer_load_dword v197, v2, s[16:19], 0 idxen              // 00000000504C: E0502000 8004C502
	buffer_load_dword v198, v3, s[16:19], 0 idxen              // 000000005054: E0502000 8004C603
	buffer_load_dword v199, v4, s[16:19], 0 idxen              // 00000000505C: E0502000 8004C704
	s_mul_i32 s60, 16, s7                                      // 000000005064: 923C0790
	s_cmp_lt_i32 3, s73                                        // 000000005068: BF044983
	s_cselect_b32 s60, s60, 0                                  // 00000000506C: 853C803C
	s_add_u32 s16, s60, s16                                    // 000000005070: 8010103C
	s_addc_u32 s17, 0, s17                                     // 000000005074: 82111180
	s_waitcnt lgkmcnt(0)                                       // 000000005078: BF8CC07F
	s_barrier                                                  // 00000000507C: BF8A0000
	ds_read_b128 a[80:83], v25 offset:17408                    // 000000005080: DBFE4400 50000019
	ds_read_b128 a[84:87], v25 offset:17664                    // 000000005088: DBFE4500 54000019
	ds_read_b128 a[88:91], v25 offset:26112                    // 000000005090: DBFE6600 58000019
	ds_read_b128 a[92:95], v25 offset:26368                    // 000000005098: DBFE6700 5C000019
	ds_read_b128 a[32:35], v24                                 // 0000000050A0: DBFE0000 20000018
	ds_read_b128 a[36:39], v24 offset:512                      // 0000000050A8: DBFE0200 24000018
	ds_read_b128 a[40:43], v24 offset:2176                     // 0000000050B0: DBFE0880 28000018
	ds_read_b128 a[44:47], v24 offset:2688                     // 0000000050B8: DBFE0A80 2C000018
	s_waitcnt vmcnt(32) lgkmcnt(0)                             // 0000000050C0: BF8C8070
	s_barrier                                                  // 0000000050C4: BF8A0000
	s_cmp_lt_i32 0, s73                                        // 0000000050C8: BF044980
	s_cbranch_scc1 label_04C4                                  // 0000000050CC: BF850010
	v_mov_b32_e32 v152, 0                                      // 0000000050D0: 7F300280
	v_mov_b32_e32 v153, 0                                      // 0000000050D4: 7F320280
	v_mov_b32_e32 v154, 0                                      // 0000000050D8: 7F340280
	v_mov_b32_e32 v155, 0                                      // 0000000050DC: 7F360280
	v_mov_b32_e32 v156, 0                                      // 0000000050E0: 7F380280
	v_mov_b32_e32 v157, 0                                      // 0000000050E4: 7F3A0280
	v_mov_b32_e32 v158, 0                                      // 0000000050E8: 7F3C0280
	v_mov_b32_e32 v159, 0                                      // 0000000050EC: 7F3E0280
	v_mov_b32_e32 v160, 0                                      // 0000000050F0: 7F400280
	v_mov_b32_e32 v161, 0                                      // 0000000050F4: 7F420280
	v_mov_b32_e32 v162, 0                                      // 0000000050F8: 7F440280
	v_mov_b32_e32 v163, 0                                      // 0000000050FC: 7F460280
	v_mov_b32_e32 v164, 0                                      // 000000005100: 7F480280
	v_mov_b32_e32 v165, 0                                      // 000000005104: 7F4A0280
	v_mov_b32_e32 v166, 0                                      // 000000005108: 7F4C0280
	v_mov_b32_e32 v167, 0                                      // 00000000510C: 7F4E0280

0000000000005110 <label_04C4>:
	ds_write_b32 v13, v152                                     // 000000005110: D81A0000 0000980D
	ds_write_b32 v13, v153 offset:1056                         // 000000005118: D81A0420 0000990D
	ds_write_b32 v13, v154 offset:128                          // 000000005120: D81A0080 00009A0D
	ds_write_b32 v13, v155 offset:1184                         // 000000005128: D81A04A0 00009B0D
	ds_write_b32 v13, v156 offset:4352                         // 000000005130: D81A1100 00009C0D
	ds_write_b32 v13, v157 offset:5408                         // 000000005138: D81A1520 00009D0D
	ds_write_b32 v13, v158 offset:4480                         // 000000005140: D81A1180 00009E0D
	ds_write_b32 v13, v159 offset:5536                         // 000000005148: D81A15A0 00009F0D
	ds_write_b32 v13, v160 offset:8704                         // 000000005150: D81A2200 0000A00D
	ds_write_b32 v13, v161 offset:9760                         // 000000005158: D81A2620 0000A10D
	ds_write_b32 v13, v162 offset:8832                         // 000000005160: D81A2280 0000A20D
	ds_write_b32 v13, v163 offset:9888                         // 000000005168: D81A26A0 0000A30D
	ds_write_b32 v13, v164 offset:13056                        // 000000005170: D81A3300 0000A40D
	ds_write_b32 v13, v165 offset:14112                        // 000000005178: D81A3720 0000A50D
	ds_write_b32 v13, v166 offset:13184                        // 000000005180: D81A3380 0000A60D
	ds_write_b32 v13, v167 offset:14240                        // 000000005188: D81A37A0 0000A70D
	s_mov_b32 s71, s70                                         // 000000005190: BEC70046
	v_lshrrev_b32_e32 v28, 4, v0                               // 000000005194: 20380084
	v_and_b32_e32 v29, 1, v28                                  // 000000005198: 263A3881
	v_lshlrev_b32_e32 v29, 1, v29                              // 00000000519C: 243A3A81
	v_mul_i32_i24_e32 v29, s71, v29                            // 0000000051A0: 0C3A3A47
	v_and_b32_e32 v30, 2, v28                                  // 0000000051A4: 263C3882
	v_lshlrev_b32_e32 v30, 5, v30                              // 0000000051A8: 243C3C85
	v_add_u32_e32 v29, v30, v29                                // 0000000051AC: 683A3B1E
	v_and_b32_e32 v28, 15, v0                                  // 0000000051B0: 2638008F
	v_lshlrev_b32_e32 v28, 2, v28                              // 0000000051B4: 24383882
	v_add_u32_e32 v1, v28, v29                                 // 0000000051B8: 68023B1C
	s_and_b32 s60, 1, s47                                      // 0000000051BC: 863C2F81
	s_mul_i32 s60, s60, s71                                    // 0000000051C0: 923C473C
	s_mul_i32 s60, s60, 8                                      // 0000000051C4: 923C883C
	s_lshr_b32 s61, s47, 1                                     // 0000000051C8: 8F3D812F
	s_mul_i32 s61, s61, 0x80                                   // 0000000051CC: 923DFF3D 00000080
	s_add_u32 s60, s60, s61                                    // 0000000051D4: 803C3D3C
	v_add_u32_e32 v1, s60, v1                                  // 0000000051D8: 6802023C
	v_add_u32_e32 v2, s71, v1                                  // 0000000051DC: 68040247
	s_mul_i32 s60, 4, s71                                      // 0000000051E0: 923C4784
	v_add_u32_e32 v3, s60, v1                                  // 0000000051E4: 6806023C
	v_add_u32_e32 v4, s60, v2                                  // 0000000051E8: 6808043C
	v_lshrrev_b32_e32 v1, 2, v1                                // 0000000051EC: 20020282
	v_lshrrev_b32_e32 v2, 2, v2                                // 0000000051F0: 20040482
	v_lshrrev_b32_e32 v3, 2, v3                                // 0000000051F4: 20060682
	v_lshrrev_b32_e32 v4, 2, v4                                // 0000000051F8: 20080882
	buffer_load_dword v32, v1, s[8:11], 0 idxen                // 0000000051FC: E0502000 80022001
	buffer_load_dword v33, v2, s[8:11], 0 idxen                // 000000005204: E0502000 80022102
	buffer_load_dword v34, v3, s[8:11], 0 idxen                // 00000000520C: E0502000 80022203
	buffer_load_dword v35, v4, s[8:11], 0 idxen                // 000000005214: E0502000 80022304
	buffer_load_dword v40, v1, s[20:23], 0 idxen               // 00000000521C: E0502000 80052801
	buffer_load_dword v41, v2, s[20:23], 0 idxen               // 000000005224: E0502000 80052902
	buffer_load_dword v42, v3, s[20:23], 0 idxen               // 00000000522C: E0502000 80052A03
	buffer_load_dword v43, v4, s[20:23], 0 idxen               // 000000005234: E0502000 80052B04
	s_waitcnt lgkmcnt(0)                                       // 00000000523C: BF8CC07F
	s_barrier                                                  // 000000005240: BF8A0000
	ds_read_b128 a[96:99], v24                                 // 000000005244: DBFE0000 60000018
	ds_read_b128 a[100:103], v24 offset:512                    // 00000000524C: DBFE0200 64000018
	ds_read_b128 a[104:107], v24 offset:2176                   // 000000005254: DBFE0880 68000018
	ds_read_b128 a[108:111], v24 offset:2688                   // 00000000525C: DBFE0A80 6C000018
	s_add_u32 s8, s68, s8                                      // 000000005264: 80080844
	s_addc_u32 s9, 0, s9                                       // 000000005268: 82090980
	s_add_u32 s20, s68, s20                                    // 00000000526C: 80141444
	s_addc_u32 s21, 0, s21                                     // 000000005270: 82151580
	s_waitcnt vmcnt(24) lgkmcnt(0)                             // 000000005274: BF8C4078
	s_barrier                                                  // 000000005278: BF8A0000
	s_cmp_lt_i32 1, s73                                        // 00000000527C: BF044981
	s_cbranch_scc1 label_0531                                  // 000000005280: BF850010
	v_mov_b32_e32 v168, 0                                      // 000000005284: 7F500280
	v_mov_b32_e32 v169, 0                                      // 000000005288: 7F520280
	v_mov_b32_e32 v170, 0                                      // 00000000528C: 7F540280
	v_mov_b32_e32 v171, 0                                      // 000000005290: 7F560280
	v_mov_b32_e32 v172, 0                                      // 000000005294: 7F580280
	v_mov_b32_e32 v173, 0                                      // 000000005298: 7F5A0280
	v_mov_b32_e32 v174, 0                                      // 00000000529C: 7F5C0280
	v_mov_b32_e32 v175, 0                                      // 0000000052A0: 7F5E0280
	v_mov_b32_e32 v176, 0                                      // 0000000052A4: 7F600280
	v_mov_b32_e32 v177, 0                                      // 0000000052A8: 7F620280
	v_mov_b32_e32 v178, 0                                      // 0000000052AC: 7F640280
	v_mov_b32_e32 v179, 0                                      // 0000000052B0: 7F660280
	v_mov_b32_e32 v180, 0                                      // 0000000052B4: 7F680280
	v_mov_b32_e32 v181, 0                                      // 0000000052B8: 7F6A0280
	v_mov_b32_e32 v182, 0                                      // 0000000052BC: 7F6C0280
	v_mov_b32_e32 v183, 0                                      // 0000000052C0: 7F6E0280

00000000000052c4 <label_0531>:
	ds_write_b32 v13, v168                                     // 0000000052C4: D81A0000 0000A80D
	ds_write_b32 v13, v169 offset:1056                         // 0000000052CC: D81A0420 0000A90D
	ds_write_b32 v13, v170 offset:128                          // 0000000052D4: D81A0080 0000AA0D
	ds_write_b32 v13, v171 offset:1184                         // 0000000052DC: D81A04A0 0000AB0D
	ds_write_b32 v13, v172 offset:4352                         // 0000000052E4: D81A1100 0000AC0D
	ds_write_b32 v13, v173 offset:5408                         // 0000000052EC: D81A1520 0000AD0D
	ds_write_b32 v13, v174 offset:4480                         // 0000000052F4: D81A1180 0000AE0D
	ds_write_b32 v13, v175 offset:5536                         // 0000000052FC: D81A15A0 0000AF0D
	ds_write_b32 v13, v176 offset:8704                         // 000000005304: D81A2200 0000B00D
	ds_write_b32 v13, v177 offset:9760                         // 00000000530C: D81A2620 0000B10D
	ds_write_b32 v13, v178 offset:8832                         // 000000005314: D81A2280 0000B20D
	ds_write_b32 v13, v179 offset:9888                         // 00000000531C: D81A26A0 0000B30D
	ds_write_b32 v13, v180 offset:13056                        // 000000005324: D81A3300 0000B40D
	ds_write_b32 v13, v181 offset:14112                        // 00000000532C: D81A3720 0000B50D
	ds_write_b32 v13, v182 offset:13184                        // 000000005334: D81A3380 0000B60D
	ds_write_b32 v13, v183 offset:14240                        // 00000000533C: D81A37A0 0000B70D
	buffer_load_dword v36, v1, s[8:11], 0 idxen                // 000000005344: E0502000 80022401
	buffer_load_dword v37, v2, s[8:11], 0 idxen                // 00000000534C: E0502000 80022502
	buffer_load_dword v38, v3, s[8:11], 0 idxen                // 000000005354: E0502000 80022603
	buffer_load_dword v39, v4, s[8:11], 0 idxen                // 00000000535C: E0502000 80022704
	buffer_load_dword v44, v1, s[20:23], 0 idxen               // 000000005364: E0502000 80052C01
	buffer_load_dword v45, v2, s[20:23], 0 idxen               // 00000000536C: E0502000 80052D02
	buffer_load_dword v46, v3, s[20:23], 0 idxen               // 000000005374: E0502000 80052E03
	buffer_load_dword v47, v4, s[20:23], 0 idxen               // 00000000537C: E0502000 80052F04
	s_waitcnt lgkmcnt(0)                                       // 000000005384: BF8CC07F
	s_barrier                                                  // 000000005388: BF8A0000
	ds_read_b128 a[112:115], v24                               // 00000000538C: DBFE0000 70000018
	ds_read_b128 a[116:119], v24 offset:512                    // 000000005394: DBFE0200 74000018
	ds_read_b128 a[120:123], v24 offset:2176                   // 00000000539C: DBFE0880 78000018
	ds_read_b128 a[124:127], v24 offset:2688                   // 0000000053A4: DBFE0A80 7C000018
	s_add_u32 s8, s68, s8                                      // 0000000053AC: 80080844
	s_addc_u32 s9, 0, s9                                       // 0000000053B0: 82090980
	s_add_u32 s20, s68, s20                                    // 0000000053B4: 80141444
	s_addc_u32 s21, 0, s21                                     // 0000000053B8: 82151580
	s_waitcnt vmcnt(16) lgkmcnt(0)                             // 0000000053BC: BF8C4070
	s_barrier                                                  // 0000000053C0: BF8A0000
	s_cmp_lt_i32 2, s73                                        // 0000000053C4: BF044982
	s_cbranch_scc1 label_0583                                  // 0000000053C8: BF850010
	v_mov_b32_e32 v184, 0                                      // 0000000053CC: 7F700280
	v_mov_b32_e32 v185, 0                                      // 0000000053D0: 7F720280
	v_mov_b32_e32 v186, 0                                      // 0000000053D4: 7F740280
	v_mov_b32_e32 v187, 0                                      // 0000000053D8: 7F760280
	v_mov_b32_e32 v188, 0                                      // 0000000053DC: 7F780280
	v_mov_b32_e32 v189, 0                                      // 0000000053E0: 7F7A0280
	v_mov_b32_e32 v190, 0                                      // 0000000053E4: 7F7C0280
	v_mov_b32_e32 v191, 0                                      // 0000000053E8: 7F7E0280
	v_mov_b32_e32 v192, 0                                      // 0000000053EC: 7F800280
	v_mov_b32_e32 v193, 0                                      // 0000000053F0: 7F820280
	v_mov_b32_e32 v194, 0                                      // 0000000053F4: 7F840280
	v_mov_b32_e32 v195, 0                                      // 0000000053F8: 7F860280
	v_mov_b32_e32 v196, 0                                      // 0000000053FC: 7F880280
	v_mov_b32_e32 v197, 0                                      // 000000005400: 7F8A0280
	v_mov_b32_e32 v198, 0                                      // 000000005404: 7F8C0280
	v_mov_b32_e32 v199, 0                                      // 000000005408: 7F8E0280

000000000000540c <label_0583>:
	ds_write_b32 v13, v184                                     // 00000000540C: D81A0000 0000B80D
	ds_write_b32 v13, v185 offset:1056                         // 000000005414: D81A0420 0000B90D
	ds_write_b32 v13, v186 offset:128                          // 00000000541C: D81A0080 0000BA0D
	ds_write_b32 v13, v187 offset:1184                         // 000000005424: D81A04A0 0000BB0D
	ds_write_b32 v13, v188 offset:4352                         // 00000000542C: D81A1100 0000BC0D
	ds_write_b32 v13, v189 offset:5408                         // 000000005434: D81A1520 0000BD0D
	ds_write_b32 v13, v190 offset:4480                         // 00000000543C: D81A1180 0000BE0D
	ds_write_b32 v13, v191 offset:5536                         // 000000005444: D81A15A0 0000BF0D
	ds_write_b32 v13, v192 offset:8704                         // 00000000544C: D81A2200 0000C00D
	ds_write_b32 v13, v193 offset:9760                         // 000000005454: D81A2620 0000C10D
	ds_write_b32 v13, v194 offset:8832                         // 00000000545C: D81A2280 0000C20D
	ds_write_b32 v13, v195 offset:9888                         // 000000005464: D81A26A0 0000C30D
	ds_write_b32 v13, v196 offset:13056                        // 00000000546C: D81A3300 0000C40D
	ds_write_b32 v13, v197 offset:14112                        // 000000005474: D81A3720 0000C50D
	ds_write_b32 v13, v198 offset:13184                        // 00000000547C: D81A3380 0000C60D
	ds_write_b32 v13, v199 offset:14240                        // 000000005484: D81A37A0 0000C70D
	s_waitcnt lgkmcnt(0)                                       // 00000000548C: BF8CC07F
	s_barrier                                                  // 000000005490: BF8A0000
	ds_read_b128 a[128:131], v24                               // 000000005494: DBFE0000 80000018
	ds_read_b128 a[132:135], v24 offset:512                    // 00000000549C: DBFE0200 84000018
	ds_read_b128 a[136:139], v24 offset:2176                   // 0000000054A4: DBFE0880 88000018
	ds_read_b128 a[140:143], v24 offset:2688                   // 0000000054AC: DBFE0A80 8C000018
	s_waitcnt vmcnt(8) lgkmcnt(0)                              // 0000000054B4: BF8C0078
	s_barrier                                                  // 0000000054B8: BF8A0000
	buffer_load_dword v11, s[24:27], 0 idxen lds               // 0000000054BC: E0512000 8006000B
	s_mov_b32 m0, s77                                          // 0000000054C4: BEFC004D
	v_add_u32_e32 v11, s69, v11                                // 0000000054C8: 68161645
	v_perm_b32 v84, v33, v32, s63                              // 0000000054CC: D1ED0054 00FE4121
	v_perm_b32 v85, v33, v32, s64                              // 0000000054D4: D1ED0055 01024121
	v_perm_b32 v86, v35, v34, s63                              // 0000000054DC: D1ED0056 00FE4523
	v_perm_b32 v87, v35, v34, s64                              // 0000000054E4: D1ED0057 01024523
	ds_write_b32 v15, v84 offset:4352                          // 0000000054EC: D81A1100 0000540F
	ds_write_b32 v15, v85 offset:5408                          // 0000000054F4: D81A1520 0000550F
	ds_write_b32 v15, v86 offset:4480                          // 0000000054FC: D81A1180 0000560F
	ds_write_b32 v15, v87 offset:5536                          // 000000005504: D81A15A0 0000570F
	ds_write_b32 v13, v32                                      // 00000000550C: D81A0000 0000200D
	ds_write_b32 v13, v33 offset:1056                          // 000000005514: D81A0420 0000210D
	ds_write_b32 v13, v34 offset:128                           // 00000000551C: D81A0080 0000220D
	ds_write_b32 v13, v35 offset:1184                          // 000000005524: D81A04A0 0000230D
	buffer_load_dword v11, s[24:27], 0 idxen lds               // 00000000552C: E0512000 8006000B
	s_mov_b32 m0, s76                                          // 000000005534: BEFC004C
	v_add_u32_e32 v11, s69, v11                                // 000000005538: 68161645
	v_perm_b32 v88, v41, v40, s63                              // 00000000553C: D1ED0058 00FE5129
	v_perm_b32 v89, v41, v40, s64                              // 000000005544: D1ED0059 01025129
	v_perm_b32 v90, v43, v42, s63                              // 00000000554C: D1ED005A 00FE552B
	v_perm_b32 v91, v43, v42, s64                              // 000000005554: D1ED005B 0102552B
	ds_write_b32 v15, v88 offset:13056                         // 00000000555C: D81A3300 0000580F
	ds_write_b32 v15, v89 offset:14112                         // 000000005564: D81A3720 0000590F
	ds_write_b32 v15, v90 offset:13184                         // 00000000556C: D81A3380 00005A0F
	ds_write_b32 v15, v91 offset:14240                         // 000000005574: D81A37A0 00005B0F
	ds_write_b32 v13, v40 offset:8704                          // 00000000557C: D81A2200 0000280D
	ds_write_b32 v13, v41 offset:9760                          // 000000005584: D81A2620 0000290D
	ds_write_b32 v13, v42 offset:8832                          // 00000000558C: D81A2280 00002A0D
	ds_write_b32 v13, v43 offset:9888                          // 000000005594: D81A26A0 00002B0D
	s_waitcnt vmcnt(1) lgkmcnt(0)                              // 00000000559C: BF8C0071
	s_barrier                                                  // 0000000055A0: BF8A0000
	ds_read_b128 a[144:147], v12                               // 0000000055A4: DBFE0000 9000000C
	ds_read_b128 a[148:151], v12 offset:512                    // 0000000055AC: DBFE0200 9400000C
	ds_read_b128 a[152:155], v12 offset:2176                   // 0000000055B4: DBFE0880 9800000C
	ds_read_b128 a[156:159], v12 offset:2688                   // 0000000055BC: DBFE0A80 9C00000C
	ds_read_b128 v[92:95], v12 offset:8704                     // 0000000055C4: D9FE2200 5C00000C
	ds_read_b128 v[96:99], v12 offset:9216                     // 0000000055CC: D9FE2400 6000000C
	ds_read_b128 v[100:103], v12 offset:10880                  // 0000000055D4: D9FE2A80 6400000C
	ds_read_b128 v[104:107], v12 offset:11392                  // 0000000055DC: D9FE2C80 6800000C
	ds_read_b32 v124, v23 offset:50688                         // 0000000055E4: D86CC600 7C000017
	ds_read_b32 v150, v23 offset:50944                         // 0000000055EC: D86CC700 96000017
	v_accvgpr_write_b32 a160, 0                                // 0000000055F4: D3D940A0 18000080
	v_mov_b32_e32 v152, 0                                      // 0000000055FC: 7F300280
	v_accvgpr_write_b32 a161, 0                                // 000000005600: D3D940A1 18000080
	v_mov_b32_e32 v153, 0                                      // 000000005608: 7F320280
	v_accvgpr_write_b32 a162, 0                                // 00000000560C: D3D940A2 18000080
	v_mov_b32_e32 v154, 0                                      // 000000005614: 7F340280
	v_accvgpr_write_b32 a163, 0                                // 000000005618: D3D940A3 18000080
	v_mov_b32_e32 v155, 0                                      // 000000005620: 7F360280
	v_accvgpr_write_b32 a164, 0                                // 000000005624: D3D940A4 18000080
	v_mov_b32_e32 v156, 0                                      // 00000000562C: 7F380280
	v_accvgpr_write_b32 a165, 0                                // 000000005630: D3D940A5 18000080
	v_mov_b32_e32 v157, 0                                      // 000000005638: 7F3A0280
	v_accvgpr_write_b32 a166, 0                                // 00000000563C: D3D940A6 18000080
	v_mov_b32_e32 v158, 0                                      // 000000005644: 7F3C0280
	v_accvgpr_write_b32 a167, 0                                // 000000005648: D3D940A7 18000080
	v_mov_b32_e32 v159, 0                                      // 000000005650: 7F3E0280
	v_accvgpr_write_b32 a168, 0                                // 000000005654: D3D940A8 18000080
	v_mov_b32_e32 v160, 0                                      // 00000000565C: 7F400280
	v_accvgpr_write_b32 a169, 0                                // 000000005660: D3D940A9 18000080
	v_mov_b32_e32 v161, 0                                      // 000000005668: 7F420280
	v_accvgpr_write_b32 a170, 0                                // 00000000566C: D3D940AA 18000080
	v_mov_b32_e32 v162, 0                                      // 000000005674: 7F440280
	v_accvgpr_write_b32 a171, 0                                // 000000005678: D3D940AB 18000080
	v_mov_b32_e32 v163, 0                                      // 000000005680: 7F460280
	v_accvgpr_write_b32 a172, 0                                // 000000005684: D3D940AC 18000080
	v_mov_b32_e32 v164, 0                                      // 00000000568C: 7F480280
	v_accvgpr_write_b32 a173, 0                                // 000000005690: D3D940AD 18000080
	v_mov_b32_e32 v165, 0                                      // 000000005698: 7F4A0280
	v_accvgpr_write_b32 a174, 0                                // 00000000569C: D3D940AE 18000080
	v_mov_b32_e32 v166, 0                                      // 0000000056A4: 7F4C0280
	v_accvgpr_write_b32 a175, 0                                // 0000000056A8: D3D940AF 18000080
	v_mov_b32_e32 v167, 0                                      // 0000000056B0: 7F4E0280
	v_accvgpr_write_b32 a176, 0                                // 0000000056B4: D3D940B0 18000080
	v_mov_b32_e32 v168, 0                                      // 0000000056BC: 7F500280
	v_accvgpr_write_b32 a177, 0                                // 0000000056C0: D3D940B1 18000080
	v_mov_b32_e32 v169, 0                                      // 0000000056C8: 7F520280
	v_accvgpr_write_b32 a178, 0                                // 0000000056CC: D3D940B2 18000080
	v_mov_b32_e32 v170, 0                                      // 0000000056D4: 7F540280
	v_accvgpr_write_b32 a179, 0                                // 0000000056D8: D3D940B3 18000080
	v_mov_b32_e32 v171, 0                                      // 0000000056E0: 7F560280
	v_accvgpr_write_b32 a180, 0                                // 0000000056E4: D3D940B4 18000080
	v_mov_b32_e32 v172, 0                                      // 0000000056EC: 7F580280
	v_accvgpr_write_b32 a181, 0                                // 0000000056F0: D3D940B5 18000080
	v_mov_b32_e32 v173, 0                                      // 0000000056F8: 7F5A0280
	v_accvgpr_write_b32 a182, 0                                // 0000000056FC: D3D940B6 18000080
	v_mov_b32_e32 v174, 0                                      // 000000005704: 7F5C0280
	v_accvgpr_write_b32 a183, 0                                // 000000005708: D3D940B7 18000080
	v_mov_b32_e32 v175, 0                                      // 000000005710: 7F5E0280
	v_accvgpr_write_b32 a184, 0                                // 000000005714: D3D940B8 18000080
	v_mov_b32_e32 v176, 0                                      // 00000000571C: 7F600280
	v_accvgpr_write_b32 a185, 0                                // 000000005720: D3D940B9 18000080
	v_mov_b32_e32 v177, 0                                      // 000000005728: 7F620280
	v_accvgpr_write_b32 a186, 0                                // 00000000572C: D3D940BA 18000080
	v_mov_b32_e32 v178, 0                                      // 000000005734: 7F640280
	v_accvgpr_write_b32 a187, 0                                // 000000005738: D3D940BB 18000080
	v_mov_b32_e32 v179, 0                                      // 000000005740: 7F660280
	v_accvgpr_write_b32 a188, 0                                // 000000005744: D3D940BC 18000080
	v_mov_b32_e32 v180, 0                                      // 00000000574C: 7F680280
	v_accvgpr_write_b32 a189, 0                                // 000000005750: D3D940BD 18000080
	v_mov_b32_e32 v181, 0                                      // 000000005758: 7F6A0280
	v_accvgpr_write_b32 a190, 0                                // 00000000575C: D3D940BE 18000080
	v_mov_b32_e32 v182, 0                                      // 000000005764: 7F6C0280
	v_accvgpr_write_b32 a191, 0                                // 000000005768: D3D940BF 18000080
	v_mov_b32_e32 v183, 0                                      // 000000005770: 7F6E0280
	v_accvgpr_write_b32 a192, 0                                // 000000005774: D3D940C0 18000080
	v_mov_b32_e32 v184, 0                                      // 00000000577C: 7F700280
	v_accvgpr_write_b32 a193, 0                                // 000000005780: D3D940C1 18000080
	v_mov_b32_e32 v185, 0                                      // 000000005788: 7F720280
	v_accvgpr_write_b32 a194, 0                                // 00000000578C: D3D940C2 18000080
	v_mov_b32_e32 v186, 0                                      // 000000005794: 7F740280
	v_accvgpr_write_b32 a195, 0                                // 000000005798: D3D940C3 18000080
	v_mov_b32_e32 v187, 0                                      // 0000000057A0: 7F760280
	v_accvgpr_write_b32 a196, 0                                // 0000000057A4: D3D940C4 18000080
	v_mov_b32_e32 v188, 0                                      // 0000000057AC: 7F780280
	v_accvgpr_write_b32 a197, 0                                // 0000000057B0: D3D940C5 18000080
	v_mov_b32_e32 v189, 0                                      // 0000000057B8: 7F7A0280
	v_accvgpr_write_b32 a198, 0                                // 0000000057BC: D3D940C6 18000080
	v_mov_b32_e32 v190, 0                                      // 0000000057C4: 7F7C0280
	v_accvgpr_write_b32 a199, 0                                // 0000000057C8: D3D940C7 18000080
	v_mov_b32_e32 v191, 0                                      // 0000000057D0: 7F7E0280
	v_accvgpr_write_b32 a200, 0                                // 0000000057D4: D3D940C8 18000080
	v_mov_b32_e32 v192, 0                                      // 0000000057DC: 7F800280
	v_accvgpr_write_b32 a201, 0                                // 0000000057E0: D3D940C9 18000080
	v_mov_b32_e32 v193, 0                                      // 0000000057E8: 7F820280
	v_accvgpr_write_b32 a202, 0                                // 0000000057EC: D3D940CA 18000080
	v_mov_b32_e32 v194, 0                                      // 0000000057F4: 7F840280
	v_accvgpr_write_b32 a203, 0                                // 0000000057F8: D3D940CB 18000080
	v_mov_b32_e32 v195, 0                                      // 000000005800: 7F860280
	v_accvgpr_write_b32 a204, 0                                // 000000005804: D3D940CC 18000080
	v_mov_b32_e32 v196, 0                                      // 00000000580C: 7F880280
	v_accvgpr_write_b32 a205, 0                                // 000000005810: D3D940CD 18000080
	v_mov_b32_e32 v197, 0                                      // 000000005818: 7F8A0280
	v_accvgpr_write_b32 a206, 0                                // 00000000581C: D3D940CE 18000080
	v_mov_b32_e32 v198, 0                                      // 000000005824: 7F8C0280
	v_accvgpr_write_b32 a207, 0                                // 000000005828: D3D940CF 18000080
	v_mov_b32_e32 v199, 0                                      // 000000005830: 7F8E0280
	v_accvgpr_write_b32 a208, 0                                // 000000005834: D3D940D0 18000080
	v_mov_b32_e32 v200, 0                                      // 00000000583C: 7F900280
	v_accvgpr_write_b32 a209, 0                                // 000000005840: D3D940D1 18000080
	v_mov_b32_e32 v201, 0                                      // 000000005848: 7F920280
	v_accvgpr_write_b32 a210, 0                                // 00000000584C: D3D940D2 18000080
	v_mov_b32_e32 v202, 0                                      // 000000005854: 7F940280
	v_accvgpr_write_b32 a211, 0                                // 000000005858: D3D940D3 18000080
	v_mov_b32_e32 v203, 0                                      // 000000005860: 7F960280
	v_accvgpr_write_b32 a212, 0                                // 000000005864: D3D940D4 18000080
	v_mov_b32_e32 v204, 0                                      // 00000000586C: 7F980280
	v_accvgpr_write_b32 a213, 0                                // 000000005870: D3D940D5 18000080
	v_mov_b32_e32 v205, 0                                      // 000000005878: 7F9A0280
	v_accvgpr_write_b32 a214, 0                                // 00000000587C: D3D940D6 18000080
	v_mov_b32_e32 v206, 0                                      // 000000005884: 7F9C0280
	v_accvgpr_write_b32 a215, 0                                // 000000005888: D3D940D7 18000080
	v_mov_b32_e32 v207, 0                                      // 000000005890: 7F9E0280
	v_accvgpr_write_b32 a216, 0                                // 000000005894: D3D940D8 18000080
	v_mov_b32_e32 v208, 0                                      // 00000000589C: 7FA00280
	v_accvgpr_write_b32 a217, 0                                // 0000000058A0: D3D940D9 18000080
	v_mov_b32_e32 v209, 0                                      // 0000000058A8: 7FA20280
	v_accvgpr_write_b32 a218, 0                                // 0000000058AC: D3D940DA 18000080
	v_mov_b32_e32 v210, 0                                      // 0000000058B4: 7FA40280
	v_accvgpr_write_b32 a219, 0                                // 0000000058B8: D3D940DB 18000080
	v_mov_b32_e32 v211, 0                                      // 0000000058C0: 7FA60280
	v_accvgpr_write_b32 a220, 0                                // 0000000058C4: D3D940DC 18000080
	v_mov_b32_e32 v212, 0                                      // 0000000058CC: 7FA80280
	v_accvgpr_write_b32 a221, 0                                // 0000000058D0: D3D940DD 18000080
	v_mov_b32_e32 v213, 0                                      // 0000000058D8: 7FAA0280
	v_accvgpr_write_b32 a222, 0                                // 0000000058DC: D3D940DE 18000080
	v_mov_b32_e32 v214, 0                                      // 0000000058E4: 7FAC0280
	v_accvgpr_write_b32 a223, 0                                // 0000000058E8: D3D940DF 18000080
	v_mov_b32_e32 v215, 0                                      // 0000000058F0: 7FAE0280
	v_accvgpr_write_b32 a224, 0                                // 0000000058F4: D3D940E0 18000080
	v_mov_b32_e32 v216, 0                                      // 0000000058FC: 7FB00280
	v_accvgpr_write_b32 a225, 0                                // 000000005900: D3D940E1 18000080
	v_mov_b32_e32 v217, 0                                      // 000000005908: 7FB20280
	v_accvgpr_write_b32 a226, 0                                // 00000000590C: D3D940E2 18000080
	v_mov_b32_e32 v218, 0                                      // 000000005914: 7FB40280
	v_accvgpr_write_b32 a227, 0                                // 000000005918: D3D940E3 18000080
	v_mov_b32_e32 v219, 0                                      // 000000005920: 7FB60280
	v_accvgpr_write_b32 a228, 0                                // 000000005924: D3D940E4 18000080
	v_mov_b32_e32 v220, 0                                      // 00000000592C: 7FB80280
	v_accvgpr_write_b32 a229, 0                                // 000000005930: D3D940E5 18000080
	v_mov_b32_e32 v221, 0                                      // 000000005938: 7FBA0280
	v_accvgpr_write_b32 a230, 0                                // 00000000593C: D3D940E6 18000080
	v_mov_b32_e32 v222, 0                                      // 000000005944: 7FBC0280
	v_accvgpr_write_b32 a231, 0                                // 000000005948: D3D940E7 18000080
	v_mov_b32_e32 v223, 0                                      // 000000005950: 7FBE0280
	v_accvgpr_write_b32 a232, 0                                // 000000005954: D3D940E8 18000080
	v_mov_b32_e32 v224, 0                                      // 00000000595C: 7FC00280
	v_accvgpr_write_b32 a233, 0                                // 000000005960: D3D940E9 18000080
	v_mov_b32_e32 v225, 0                                      // 000000005968: 7FC20280
	v_accvgpr_write_b32 a234, 0                                // 00000000596C: D3D940EA 18000080
	v_mov_b32_e32 v226, 0                                      // 000000005974: 7FC40280
	v_accvgpr_write_b32 a235, 0                                // 000000005978: D3D940EB 18000080
	v_mov_b32_e32 v227, 0                                      // 000000005980: 7FC60280
	v_accvgpr_write_b32 a236, 0                                // 000000005984: D3D940EC 18000080
	v_mov_b32_e32 v228, 0                                      // 00000000598C: 7FC80280
	v_accvgpr_write_b32 a237, 0                                // 000000005990: D3D940ED 18000080
	v_mov_b32_e32 v229, 0                                      // 000000005998: 7FCA0280
	v_accvgpr_write_b32 a238, 0                                // 00000000599C: D3D940EE 18000080
	v_mov_b32_e32 v230, 0                                      // 0000000059A4: 7FCC0280
	v_accvgpr_write_b32 a239, 0                                // 0000000059A8: D3D940EF 18000080
	v_mov_b32_e32 v231, 0                                      // 0000000059B0: 7FCE0280
	v_accvgpr_write_b32 a240, 0                                // 0000000059B4: D3D940F0 18000080
	v_mov_b32_e32 v232, 0                                      // 0000000059BC: 7FD00280
	v_accvgpr_write_b32 a241, 0                                // 0000000059C0: D3D940F1 18000080
	v_mov_b32_e32 v233, 0                                      // 0000000059C8: 7FD20280
	v_accvgpr_write_b32 a242, 0                                // 0000000059CC: D3D940F2 18000080
	v_mov_b32_e32 v234, 0                                      // 0000000059D4: 7FD40280
	v_accvgpr_write_b32 a243, 0                                // 0000000059D8: D3D940F3 18000080
	v_mov_b32_e32 v235, 0                                      // 0000000059E0: 7FD60280
	v_accvgpr_write_b32 a244, 0                                // 0000000059E4: D3D940F4 18000080
	v_mov_b32_e32 v236, 0                                      // 0000000059EC: 7FD80280
	v_accvgpr_write_b32 a245, 0                                // 0000000059F0: D3D940F5 18000080
	v_mov_b32_e32 v237, 0                                      // 0000000059F8: 7FDA0280
	v_accvgpr_write_b32 a246, 0                                // 0000000059FC: D3D940F6 18000080
	v_mov_b32_e32 v238, 0                                      // 000000005A04: 7FDC0280
	v_accvgpr_write_b32 a247, 0                                // 000000005A08: D3D940F7 18000080
	v_mov_b32_e32 v239, 0                                      // 000000005A10: 7FDE0280
	v_accvgpr_write_b32 a248, 0                                // 000000005A14: D3D940F8 18000080
	v_mov_b32_e32 v240, 0                                      // 000000005A1C: 7FE00280
	v_accvgpr_write_b32 a249, 0                                // 000000005A20: D3D940F9 18000080
	v_mov_b32_e32 v241, 0                                      // 000000005A28: 7FE20280
	v_accvgpr_write_b32 a250, 0                                // 000000005A2C: D3D940FA 18000080
	v_mov_b32_e32 v242, 0                                      // 000000005A34: 7FE40280
	v_accvgpr_write_b32 a251, 0                                // 000000005A38: D3D940FB 18000080
	v_mov_b32_e32 v243, 0                                      // 000000005A40: 7FE60280
	v_accvgpr_write_b32 a252, 0                                // 000000005A44: D3D940FC 18000080
	v_mov_b32_e32 v244, 0                                      // 000000005A4C: 7FE80280
	v_accvgpr_write_b32 a253, 0                                // 000000005A50: D3D940FD 18000080
	v_mov_b32_e32 v245, 0                                      // 000000005A58: 7FEA0280
	v_accvgpr_write_b32 a254, 0                                // 000000005A5C: D3D940FE 18000080
	v_mov_b32_e32 v246, 0                                      // 000000005A64: 7FEC0280
	v_accvgpr_write_b32 a255, 0                                // 000000005A68: D3D940FF 18000080
	v_mov_b32_e32 v247, 0                                      // 000000005A70: 7FEE0280
	v_mov_b32_e32 v136, 0                                      // 000000005A74: 7F100280
	v_mov_b32_e32 v137, 0                                      // 000000005A78: 7F120280
	v_mov_b32_e32 v138, 0                                      // 000000005A7C: 7F140280
	v_mov_b32_e32 v139, 0                                      // 000000005A80: 7F160280
	v_mov_b32_e32 v140, 0                                      // 000000005A84: 7F180280
	v_mov_b32_e32 v141, 0                                      // 000000005A88: 7F1A0280
	v_mov_b32_e32 v142, 0                                      // 000000005A8C: 7F1C0280
	v_mov_b32_e32 v143, 0                                      // 000000005A90: 7F1E0280
	v_mov_b32_e32 v128, 0                                      // 000000005A94: 7F000280
	v_mov_b32_e32 v129, 0                                      // 000000005A98: 7F020280
	v_mov_b32_e32 v130, 0                                      // 000000005A9C: 7F040280
	v_mov_b32_e32 v131, 0                                      // 000000005AA0: 7F060280
	v_mov_b32_e32 v132, 0                                      // 000000005AA4: 7F080280
	v_mov_b32_e32 v133, 0                                      // 000000005AA8: 7F0A0280
	v_mov_b32_e32 v134, 0                                      // 000000005AAC: 7F0C0280
	v_mov_b32_e32 v135, 0                                      // 000000005AB0: 7F0E0280
	s_waitcnt lgkmcnt(0)                                       // 000000005AB4: BF8CC07F
	s_barrier                                                  // 000000005AB8: BF8A0000
	buffer_load_dword v32, v1, s[8:11], 0 idxen                // 000000005ABC: E0502000 80022001
	buffer_load_dword v33, v2, s[8:11], 0 idxen                // 000000005AC4: E0502000 80022102
	buffer_load_dword v34, v3, s[8:11], 0 idxen                // 000000005ACC: E0502000 80022203
	buffer_load_dword v35, v4, s[8:11], 0 idxen                // 000000005AD4: E0502000 80022304
	buffer_load_dword v40, v1, s[20:23], 0 idxen               // 000000005ADC: E0502000 80052801
	buffer_load_dword v41, v2, s[20:23], 0 idxen               // 000000005AE4: E0502000 80052902
	buffer_load_dword v42, v3, s[20:23], 0 idxen               // 000000005AEC: E0502000 80052A03
	buffer_load_dword v43, v4, s[20:23], 0 idxen               // 000000005AF4: E0502000 80052B04
	buffer_load_dword v11, s[24:27], 0 idxen lds               // 000000005AFC: E0512000 8006000B
	s_mov_b32 m0, s77                                          // 000000005B04: BEFC004D
	v_add_u32_e32 v11, s69, v11                                // 000000005B08: 68161645
	s_add_u32 s8, s68, s8                                      // 000000005B0C: 80080844
	s_addc_u32 s9, 0, s9                                       // 000000005B10: 82090980
	s_add_u32 s20, s68, s20                                    // 000000005B14: 80141444
	s_addc_u32 s21, 0, s21                                     // 000000005B18: 82151580
	v_mul_f32_e32 v124, s49, v124                              // 000000005B1C: 0AF8F831
	v_perm_b32 v84, v37, v36, s63                              // 000000005B20: D1ED0054 00FE4925
	v_perm_b32 v85, v37, v36, s64                              // 000000005B28: D1ED0055 01024925
	v_perm_b32 v86, v39, v38, s63                              // 000000005B30: D1ED0056 00FE4D27
	v_perm_b32 v87, v39, v38, s64                              // 000000005B38: D1ED0057 01024D27
	v_perm_b32 v88, v45, v44, s63                              // 000000005B40: D1ED0058 00FE592D
	v_perm_b32 v89, v45, v44, s64                              // 000000005B48: D1ED0059 0102592D
	v_perm_b32 v90, v47, v46, s63                              // 000000005B50: D1ED005A 00FE5D2F
	v_perm_b32 v91, v47, v46, s64                              // 000000005B58: D1ED005B 01025D2F
	v_mov_b32_dpp v127, v124 quad_perm:[3,3,3,3] row_mask:0xf bank_mask:0xf// 000000005B60: 7EFE02FA FF00FF7C
	v_mov_b32_dpp v126, v124 quad_perm:[2,2,2,2] row_mask:0xf bank_mask:0xf// 000000005B68: 7EFC02FA FF00AA7C
	v_mov_b32_dpp v125, v124 quad_perm:[1,1,1,1] row_mask:0xf bank_mask:0xf// 000000005B70: 7EFA02FA FF00557C
	v_mov_b32_dpp v124, v124 quad_perm:[0,0,0,0] row_mask:0xf bank_mask:0xf// 000000005B78: 7EF802FA FF00007C
	s_waitcnt vmcnt(9)                                         // 000000005B80: BF8C0F79
	s_barrier                                                  // 000000005B84: BF8A0000
	s_cmp_lt_i32 s47, 2                                        // 000000005B88: BF04822F
	s_cbranch_scc0 label_0BF5                                  // 000000005B8C: BF840491
	s_nop 0                                                    // 000000005B90: BF800000
	s_nop 0                                                    // 000000005B94: BF800000
	s_nop 0                                                    // 000000005B98: BF800000

0000000000005b9c <label_0767>:
	s_waitcnt lgkmcnt(4)                                       // 000000005B9C: BF8CC47F
	s_barrier                                                  // 000000005BA0: BF8A0000
	v_mfma_f32_16x16x16_bf16 v[48:51], a[144:145], a[0:1], 0   // 000000005BA4: D3E10030 1A020190
	ds_write_b32 v13, v44 offset:8704                          // 000000005BAC: D81A2200 00002C0D
	ds_write_b32 v13, v45 offset:9760                          // 000000005BB4: D81A2620 00002D0D
	v_mfma_f32_16x16x16_bf16 v[48:51], a[146:147], a[2:3], v[48:51]// 000000005BBC: D3E10030 1CC20592
	v_mul_f32_e32 v128, s48, v128                              // 000000005BC4: 0B010030
	v_mul_f32_e32 v129, s48, v129                              // 000000005BC8: 0B030230
	v_mfma_f32_16x16x16_bf16 v[48:51], a[148:149], a[4:5], v[48:51]// 000000005BCC: D3E10030 1CC20994
	ds_write_b32 v13, v46 offset:8832                          // 000000005BD4: D81A2280 00002E0D
	ds_write_b32 v13, v47 offset:9888                          // 000000005BDC: D81A26A0 00002F0D
	v_mfma_f32_16x16x16_bf16 v[48:51], a[150:151], a[6:7], v[48:51]// 000000005BE4: D3E10030 1CC20D96
	v_mul_f32_e32 v130, s48, v130                              // 000000005BEC: 0B050430
	v_mul_f32_e32 v131, s48, v131                              // 000000005BF0: 0B070630
	v_mfma_f32_16x16x16_bf16 v[48:51], a[152:153], a[8:9], v[48:51]// 000000005BF4: D3E10030 1CC21198
	v_mul_f32_e32 v132, s48, v132                              // 000000005BFC: 0B090830
	v_mul_f32_e32 v133, s48, v133                              // 000000005C00: 0B0B0A30
	v_mfma_f32_16x16x16_bf16 v[48:51], a[154:155], a[10:11], v[48:51]// 000000005C04: D3E10030 1CC2159A
	v_mul_f32_e32 v134, s48, v134                              // 000000005C0C: 0B0D0C30
	v_mul_f32_e32 v135, s48, v135                              // 000000005C10: 0B0F0E30
	v_mfma_f32_16x16x16_bf16 v[48:51], a[156:157], a[12:13], v[48:51]// 000000005C14: D3E10030 1CC2199C
	v_perm_b32 v128, v129, v128, s64                           // 000000005C1C: D1ED0080 01030181
	v_perm_b32 v129, v131, v130, s64                           // 000000005C24: D1ED0081 01030583
	v_mfma_f32_16x16x16_bf16 v[48:51], a[158:159], a[14:15], v[48:51]// 000000005C2C: D3E10030 1CC21D9E
	v_perm_b32 v130, v133, v132, s64                           // 000000005C34: D1ED0082 01030985
	v_perm_b32 v131, v135, v134, s64                           // 000000005C3C: D1ED0083 01030D87
	v_mfma_f32_16x16x16_bf16 v[52:55], a[144:145], a[16:17], 0 // 000000005C44: D3E10034 1A022190
	ds_write_b64 v22, v[128:129] offset:24320                  // 000000005C4C: D89A5F00 00008016
	v_mfma_f32_16x16x16_bf16 v[52:55], a[146:147], a[18:19], v[52:55]// 000000005C54: D3E10034 1CD22592
	v_mfma_f32_16x16x16_bf16 v[52:55], a[148:149], a[20:21], v[52:55]// 000000005C5C: D3E10034 1CD22994
	ds_write_b64 v22, v[130:131] offset:24864                  // 000000005C64: D89A6120 00008216
	v_mfma_f32_16x16x16_bf16 v[52:55], a[150:151], a[22:23], v[52:55]// 000000005C6C: D3E10034 1CD22D96
	v_mfma_f32_16x16x16_bf16 v[52:55], a[152:153], a[24:25], v[52:55]// 000000005C74: D3E10034 1CD23198
	ds_read_b128 v[108:111], v14 offset:13056                  // 000000005C7C: D9FE3300 6C00000E
	ds_write_b32 v13, v36                                      // 000000005C84: D81A0000 0000240D
	v_mfma_f32_16x16x16_bf16 v[52:55], a[154:155], a[26:27], v[52:55]// 000000005C8C: D3E10034 1CD2359A
	v_mfma_f32_16x16x16_bf16 v[52:55], a[156:157], a[28:29], v[52:55]// 000000005C94: D3E10034 1CD2399C
	v_mfma_f32_16x16x16_bf16 v[52:55], a[158:159], a[30:31], v[52:55]// 000000005C9C: D3E10034 1CD23D9E
	ds_read_b128 v[112:115], v14 offset:13568                  // 000000005CA4: D9FE3500 7000000E
	ds_write_b32 v13, v37 offset:1056                          // 000000005CAC: D81A0420 0000250D
	v_mfma_f32_16x16x16_bf16 v[56:59], a[144:145], a[32:33], 0 // 000000005CB4: D3E10038 1A024190
	v_mfma_f32_16x16x16_bf16 v[56:59], a[146:147], a[34:35], v[56:59]// 000000005CBC: D3E10038 1CE24592
	v_mfma_f32_16x16x16_bf16 v[56:59], a[148:149], a[36:37], v[56:59]// 000000005CC4: D3E10038 1CE24994
	ds_read_b128 v[116:119], v14 offset:15232                  // 000000005CCC: D9FE3B80 7400000E
	ds_write_b32 v13, v38 offset:128                           // 000000005CD4: D81A0080 0000260D
	v_mfma_f32_16x16x16_bf16 v[56:59], a[150:151], a[38:39], v[56:59]// 000000005CDC: D3E10038 1CE24D96
	v_mfma_f32_16x16x16_bf16 v[56:59], a[152:153], a[40:41], v[56:59]// 000000005CE4: D3E10038 1CE25198
	v_mfma_f32_16x16x16_bf16 v[56:59], a[154:155], a[42:43], v[56:59]// 000000005CEC: D3E10038 1CE2559A
	ds_read_b128 v[120:123], v14 offset:15744                  // 000000005CF4: D9FE3D80 7800000E
	ds_write_b32 v13, v39 offset:1184                          // 000000005CFC: D81A04A0 0000270D
	v_mfma_f32_16x16x16_bf16 v[56:59], a[156:157], a[44:45], v[56:59]// 000000005D04: D3E10038 1CE2599C
	v_mfma_f32_16x16x16_bf16 v[56:59], a[158:159], a[46:47], v[56:59]// 000000005D0C: D3E10038 1CE25D9E
	s_cmp_lt_i32 s73, 3                                        // 000000005D14: BF048349
	s_cbranch_scc0 label_07D6                                  // 000000005D18: BF84000F
	s_cmp_eq_i32 s73, 1                                        // 000000005D1C: BF008149
	s_cbranch_scc1 label_07CC                                  // 000000005D20: BF850003
	s_cmp_eq_i32 s73, 2                                        // 000000005D24: BF008249
	s_cbranch_scc1 label_07D1                                  // 000000005D28: BF850006
	s_branch label_07D6                                        // 000000005D2C: BF82000A

0000000000005d30 <label_07CC>:
	v_mov_b32_e32 v52, v151                                    // 000000005D30: 7E680397
	v_mov_b32_e32 v53, v151                                    // 000000005D34: 7E6A0397
	v_mov_b32_e32 v54, v151                                    // 000000005D38: 7E6C0397
	v_mov_b32_e32 v55, v151                                    // 000000005D3C: 7E6E0397
	s_branch label_07D1                                        // 000000005D40: BF820000

0000000000005d44 <label_07D1>:
	v_mov_b32_e32 v56, v151                                    // 000000005D44: 7E700397
	v_mov_b32_e32 v57, v151                                    // 000000005D48: 7E720397
	v_mov_b32_e32 v58, v151                                    // 000000005D4C: 7E740397
	v_mov_b32_e32 v59, v151                                    // 000000005D50: 7E760397
	s_branch label_07D6                                        // 000000005D54: BF820000

0000000000005d58 <label_07D6>:
	s_waitcnt lgkmcnt(8)                                       // 000000005D58: BF8CC87F
	s_barrier                                                  // 000000005D5C: BF8A0000
	v_mfma_f32_16x16x16_bf16 v[72:75], v[92:93], a[96:97], 0   // 000000005D60: D3E10048 1202C15C
	ds_read_b128 a[144:147], v14 offset:4352                   // 000000005D68: DBFE1100 9000000E
	ds_read_b128 a[148:151], v14 offset:4864                   // 000000005D70: DBFE1300 9400000E
	v_mfma_f32_16x16x16_bf16 v[72:75], v[94:95], a[98:99], v[72:75]// 000000005D78: D3E10048 1522C55E
	v_fma_f32 v48, v48, s57, -v124                             // 000000005D80: D1CB0030 85F07330
	v_fma_f32 v49, v49, s57, -v125                             // 000000005D88: D1CB0031 85F47331
	v_fma_f32 v50, v50, s57, -v126                             // 000000005D90: D1CB0032 85F87332
	v_mfma_f32_16x16x16_bf16 v[72:75], v[96:97], a[100:101], v[72:75]// 000000005D98: D3E10048 1522C960
	v_fma_f32 v51, v51, s57, -v127                             // 000000005DA0: D1CB0033 85FC7333
	v_fma_f32 v52, v52, s57, -v124                             // 000000005DA8: D1CB0034 85F07334
	v_fma_f32 v53, v53, s57, -v125                             // 000000005DB0: D1CB0035 85F47335
	v_mfma_f32_16x16x16_bf16 v[72:75], v[98:99], a[102:103], v[72:75]// 000000005DB8: D3E10048 1522CD62
	v_fma_f32 v54, v54, s57, -v126                             // 000000005DC0: D1CB0036 85F87336
	v_fma_f32 v55, v55, s57, -v127                             // 000000005DC8: D1CB0037 85FC7337
	v_fma_f32 v56, v56, s57, -v124                             // 000000005DD0: D1CB0038 85F07338
	v_mfma_f32_16x16x16_bf16 v[72:75], v[100:101], a[104:105], v[72:75]// 000000005DD8: D3E10048 1522D164
	ds_read_b128 a[152:155], v14 offset:6528                   // 000000005DE0: DBFE1980 9800000E
	ds_read_b128 a[156:159], v14 offset:7040                   // 000000005DE8: DBFE1B80 9C00000E
	v_mfma_f32_16x16x16_bf16 v[72:75], v[102:103], a[106:107], v[72:75]// 000000005DF0: D3E10048 1522D566
	v_fma_f32 v57, v57, s57, -v125                             // 000000005DF8: D1CB0039 85F47339
	v_fma_f32 v58, v58, s57, -v126                             // 000000005E00: D1CB003A 85F8733A
	v_fma_f32 v59, v59, s57, -v127                             // 000000005E08: D1CB003B 85FC733B
	v_mfma_f32_16x16x16_bf16 v[72:75], v[104:105], a[108:109], v[72:75]// 000000005E10: D3E10048 1522D968
	v_exp_f32_e32 v48, v48                                     // 000000005E18: 7E604130
	v_mfma_f32_16x16x16_bf16 v[72:75], v[106:107], a[110:111], v[72:75]// 000000005E1C: D3E10048 1522DD6A
	v_exp_f32_e32 v49, v49                                     // 000000005E24: 7E624131
	v_mfma_f32_16x16x16_bf16 v[76:79], v[92:93], a[112:113], 0 // 000000005E28: D3E1004C 1202E15C
	ds_read_b32 v136, v21 offset:24320                         // 000000005E30: D86C5F00 88000015
	ds_read_b32 v137, v21 offset:24336                         // 000000005E38: D86C5F10 89000015
	v_mfma_f32_16x16x16_bf16 v[76:79], v[94:95], a[114:115], v[76:79]// 000000005E40: D3E1004C 1532E55E
	v_exp_f32_e32 v50, v50                                     // 000000005E48: 7E644132
	v_mfma_f32_16x16x16_bf16 v[76:79], v[96:97], a[116:117], v[76:79]// 000000005E4C: D3E1004C 1532E960
	ds_read_b32 v138, v21 offset:26496                         // 000000005E54: D86C6780 8A000015
	ds_read_b32 v139, v21 offset:26512                         // 000000005E5C: D86C6790 8B000015
	v_mfma_f32_16x16x16_bf16 v[76:79], v[98:99], a[118:119], v[76:79]// 000000005E64: D3E1004C 1532ED62
	v_exp_f32_e32 v51, v51                                     // 000000005E6C: 7E664133
	v_mfma_f32_16x16x16_bf16 v[76:79], v[100:101], a[120:121], v[76:79]// 000000005E70: D3E1004C 1532F164
	v_exp_f32_e32 v52, v52                                     // 000000005E78: 7E684134
	v_mfma_f32_16x16x16_bf16 v[76:79], v[102:103], a[122:123], v[76:79]// 000000005E7C: D3E1004C 1532F566
	v_exp_f32_e32 v53, v53                                     // 000000005E84: 7E6A4135
	v_mfma_f32_16x16x16_bf16 v[76:79], v[104:105], a[124:125], v[76:79]// 000000005E88: D3E1004C 1532F968
	v_exp_f32_e32 v54, v54                                     // 000000005E90: 7E6C4136
	v_mfma_f32_16x16x16_bf16 v[76:79], v[106:107], a[126:127], v[76:79]// 000000005E94: D3E1004C 1532FD6A
	v_exp_f32_e32 v55, v55                                     // 000000005E9C: 7E6E4137
	v_mfma_f32_16x16x16_bf16 v[80:83], v[92:93], a[128:129], 0 // 000000005EA0: D3E10050 1203015C
	v_exp_f32_e32 v56, v56                                     // 000000005EA8: 7E704138
	v_mfma_f32_16x16x16_bf16 v[80:83], v[94:95], a[130:131], v[80:83]// 000000005EAC: D3E10050 1543055E
	v_exp_f32_e32 v57, v57                                     // 000000005EB4: 7E724139
	v_mfma_f32_16x16x16_bf16 v[80:83], v[96:97], a[132:133], v[80:83]// 000000005EB8: D3E10050 15430960
	v_exp_f32_e32 v58, v58                                     // 000000005EC0: 7E74413A
	v_mfma_f32_16x16x16_bf16 v[80:83], v[98:99], a[134:135], v[80:83]// 000000005EC4: D3E10050 15430D62
	v_exp_f32_e32 v59, v59                                     // 000000005ECC: 7E76413B
	v_mfma_f32_16x16x16_bf16 v[80:83], v[100:101], a[136:137], v[80:83]// 000000005ED0: D3E10050 15431164
	v_perm_b32 v144, v49, v48, s64                             // 000000005ED8: D1ED0090 01026131
	v_perm_b32 v145, v51, v50, s64                             // 000000005EE0: D1ED0091 01026533
	v_perm_b32 v146, v53, v52, s64                             // 000000005EE8: D1ED0092 01026935
	v_mfma_f32_16x16x16_bf16 v[80:83], v[102:103], a[138:139], v[80:83]// 000000005EF0: D3E10050 15431566
	v_perm_b32 v147, v55, v54, s64                             // 000000005EF8: D1ED0093 01026D37
	v_perm_b32 v148, v57, v56, s64                             // 000000005F00: D1ED0094 01027139
	v_perm_b32 v149, v59, v58, s64                             // 000000005F08: D1ED0095 0102753B
	v_mfma_f32_16x16x16_bf16 v[80:83], v[104:105], a[140:141], v[80:83]// 000000005F10: D3E10050 15431968
	s_add_u32 s32, s66, s32                                    // 000000005F18: 80202042
	s_addc_u32 s33, 0, s33                                     // 000000005F1C: 82212180
	v_mfma_f32_16x16x16_bf16 v[80:83], v[106:107], a[142:143], v[80:83]// 000000005F20: D3E10050 15431D6A
	s_waitcnt lgkmcnt(0)                                       // 000000005F28: BF8CC07F
	s_barrier                                                  // 000000005F2C: BF8A0000
	v_mfma_f32_16x16x16_bf16 v[152:155], v[108:109], v[144:145], v[152:155]// 000000005F30: D3E10098 0663216C
	v_subrev_f32_dpp v72, v150, v72 quad_perm:[0,0,0,0] row_mask:0xf bank_mask:0xf// 000000005F38: 069090FA FF000096
	v_subrev_f32_dpp v73, v150, v73 quad_perm:[1,1,1,1] row_mask:0xf bank_mask:0xf// 000000005F40: 069292FA FF005596
	v_subrev_f32_dpp v74, v150, v74 quad_perm:[2,2,2,2] row_mask:0xf bank_mask:0xf// 000000005F48: 069494FA FF00AA96
	v_mfma_f32_16x16x16_bf16 v[156:159], v[110:111], v[144:145], v[156:159]// 000000005F50: D3E1009C 0673216E
	v_subrev_f32_dpp v75, v150, v75 quad_perm:[3,3,3,3] row_mask:0xf bank_mask:0xf// 000000005F58: 069696FA FF00FF96
	v_subrev_f32_dpp v76, v150, v76 quad_perm:[0,0,0,0] row_mask:0xf bank_mask:0xf// 000000005F60: 069898FA FF000096
	v_subrev_f32_dpp v77, v150, v77 quad_perm:[1,1,1,1] row_mask:0xf bank_mask:0xf// 000000005F68: 069A9AFA FF005596
	v_mfma_f32_16x16x16_bf16 v[160:163], v[112:113], v[144:145], v[160:163]// 000000005F70: D3E100A0 06832170
	v_mul_f32_e32 v72, v48, v72                                // 000000005F78: 0A909130
	v_mul_f32_e32 v73, v49, v73                                // 000000005F7C: 0A929331
	v_mul_f32_e32 v74, v50, v74                                // 000000005F80: 0A949532
	v_mfma_f32_16x16x16_bf16 v[164:167], v[114:115], v[144:145], v[164:167]// 000000005F84: D3E100A4 06932172
	v_mul_f32_e32 v75, v51, v75                                // 000000005F8C: 0A969733
	v_mul_f32_e32 v76, v52, v76                                // 000000005F90: 0A989934
	v_mul_f32_e32 v77, v53, v77                                // 000000005F94: 0A9A9B35
	v_mfma_f32_16x16x16_bf16 v[168:171], v[116:117], v[144:145], v[168:171]// 000000005F98: D3E100A8 06A32174
	v_perm_b32 v72, v73, v72, s64                              // 000000005FA0: D1ED0048 01029149
	v_perm_b32 v73, v75, v74, s64                              // 000000005FA8: D1ED0049 0102954B
	v_perm_b32 v74, v77, v76, s64                              // 000000005FB0: D1ED004A 0102994D
	v_mfma_f32_16x16x16_bf16 v[172:175], v[118:119], v[144:145], v[172:175]// 000000005FB8: D3E100AC 06B32176
	v_mov_b32_dpp v18, v72 quad_perm:[1,0,3,2] row_mask:0xf bank_mask:0xf// 000000005FC0: 7E2402FA FF00B148
	v_perm_b32 v48, v18, v72, v17                              // 000000005FC8: D1ED0030 04469112
	v_mov_b32_dpp v18, v73 quad_perm:[1,0,3,2] row_mask:0xf bank_mask:0xf// 000000005FD0: 7E2402FA FF00B149
	v_mfma_f32_16x16x16_bf16 v[176:179], v[120:121], v[144:145], v[176:179]// 000000005FD8: D3E100B0 06C32178
	v_perm_b32 v49, v18, v73, v17                              // 000000005FE0: D1ED0031 04469312
	v_mov_b32_dpp v18, v74 quad_perm:[1,0,3,2] row_mask:0xf bank_mask:0xf// 000000005FE8: 7E2402FA FF00B14A
	v_perm_b32 v50, v18, v74, v17                              // 000000005FF0: D1ED0032 04469512
	v_mfma_f32_16x16x16_bf16 v[180:183], v[122:123], v[144:145], v[180:183]// 000000005FF8: D3E100B4 06D3217A
	ds_write_b32 v20, v48 offset:17408                         // 000000006000: D81A4400 00003014
	v_mfma_f32_16x16x16_bf16 v[184:187], v[108:109], v[146:147], v[184:187]// 000000006008: D3E100B8 06E3256C
	v_subrev_f32_dpp v78, v150, v78 quad_perm:[2,2,2,2] row_mask:0xf bank_mask:0xf// 000000006010: 069C9CFA FF00AA96
	v_subrev_f32_dpp v79, v150, v79 quad_perm:[3,3,3,3] row_mask:0xf bank_mask:0xf// 000000006018: 069E9EFA FF00FF96
	v_subrev_f32_dpp v80, v150, v80 quad_perm:[0,0,0,0] row_mask:0xf bank_mask:0xf// 000000006020: 06A0A0FA FF000096
	v_mfma_f32_16x16x16_bf16 v[188:191], v[110:111], v[146:147], v[188:191]// 000000006028: D3E100BC 06F3256E
	ds_write_b32 v20, v49 offset:17952                         // 000000006030: D81A4620 00003114
	v_mfma_f32_16x16x16_bf16 v[192:195], v[112:113], v[146:147], v[192:195]// 000000006038: D3E100C0 07032570
	v_subrev_f32_dpp v81, v150, v81 quad_perm:[1,1,1,1] row_mask:0xf bank_mask:0xf// 000000006040: 06A2A2FA FF005596
	v_subrev_f32_dpp v82, v150, v82 quad_perm:[2,2,2,2] row_mask:0xf bank_mask:0xf// 000000006048: 06A4A4FA FF00AA96
	v_subrev_f32_dpp v83, v150, v83 quad_perm:[3,3,3,3] row_mask:0xf bank_mask:0xf// 000000006050: 06A6A6FA FF00FF96
	v_mfma_f32_16x16x16_bf16 v[196:199], v[114:115], v[146:147], v[196:199]// 000000006058: D3E100C4 07132572
	ds_write_b32 v20, v50 offset:19712                         // 000000006060: D81A4D00 00003214
	v_mfma_f32_16x16x16_bf16 v[200:203], v[116:117], v[146:147], v[200:203]// 000000006068: D3E100C8 07232574
	v_mul_f32_e32 v78, v54, v78                                // 000000006070: 0A9C9D36
	v_mul_f32_e32 v79, v55, v79                                // 000000006074: 0A9E9F37
	v_mul_f32_e32 v80, v56, v80                                // 000000006078: 0AA0A138
	v_mfma_f32_16x16x16_bf16 v[204:207], v[118:119], v[146:147], v[204:207]// 00000000607C: D3E100CC 07332576
	v_mul_f32_e32 v81, v57, v81                                // 000000006084: 0AA2A339
	v_mul_f32_e32 v82, v58, v82                                // 000000006088: 0AA4A53A
	v_mul_f32_e32 v83, v59, v83                                // 00000000608C: 0AA6A73B
	v_mfma_f32_16x16x16_bf16 v[208:211], v[120:121], v[146:147], v[208:211]// 000000006090: D3E100D0 07432578
	v_perm_b32 v75, v79, v78, s64                              // 000000006098: D1ED004B 01029D4F
	v_perm_b32 v76, v81, v80, s64                              // 0000000060A0: D1ED004C 0102A151
	v_perm_b32 v77, v83, v82, s64                              // 0000000060A8: D1ED004D 0102A553
	v_mfma_f32_16x16x16_bf16 v[212:215], v[122:123], v[146:147], v[212:215]// 0000000060B0: D3E100D4 0753257A
	v_mov_b32_dpp v18, v75 quad_perm:[1,0,3,2] row_mask:0xf bank_mask:0xf// 0000000060B8: 7E2402FA FF00B14B
	v_perm_b32 v51, v18, v75, v17                              // 0000000060C0: D1ED0033 04469712
	v_mov_b32_dpp v18, v76 quad_perm:[1,0,3,2] row_mask:0xf bank_mask:0xf// 0000000060C8: 7E2402FA FF00B14C
	v_mfma_f32_16x16x16_bf16 v[216:219], v[108:109], v[148:149], v[216:219]// 0000000060D0: D3E100D8 0763296C
	v_perm_b32 v52, v18, v76, v17                              // 0000000060D8: D1ED0034 04469912
	v_mov_b32_dpp v18, v77 quad_perm:[1,0,3,2] row_mask:0xf bank_mask:0xf// 0000000060E0: 7E2402FA FF00B14D
	v_perm_b32 v53, v18, v77, v17                              // 0000000060E8: D1ED0035 04469B12
	v_mfma_f32_16x16x16_bf16 v[220:223], v[110:111], v[148:149], v[220:223]// 0000000060F0: D3E100DC 0773296E
	ds_write_b32 v20, v51 offset:20256                         // 0000000060F8: D81A4F20 00003314
	v_mfma_f32_16x16x16_bf16 v[224:227], v[112:113], v[148:149], v[224:227]// 000000006100: D3E100E0 07832970
	v_mfma_f32_16x16x16_bf16 v[228:231], v[114:115], v[148:149], v[228:231]// 000000006108: D3E100E4 07932972
	ds_write_b32 v20, v52 offset:22016                         // 000000006110: D81A5600 00003414
	ds_write_b32 v20, v53 offset:22560                         // 000000006118: D81A5820 00003514
	v_mfma_f32_16x16x16_bf16 v[232:235], v[116:117], v[148:149], v[232:235]// 000000006120: D3E100E8 07A32974
	v_mfma_f32_16x16x16_bf16 v[236:239], v[118:119], v[148:149], v[236:239]// 000000006128: D3E100EC 07B32976
	ds_write_b32 v15, v84 offset:4352                          // 000000006130: D81A1100 0000540F
	ds_write_b32 v15, v85 offset:5408                          // 000000006138: D81A1520 0000550F
	v_mfma_f32_16x16x16_bf16 v[240:243], v[120:121], v[148:149], v[240:243]// 000000006140: D3E100F0 07C32978
	s_nop 0                                                    // 000000006148: BF800000
	s_nop 0                                                    // 00000000614C: BF800000
	s_nop 0                                                    // 000000006150: BF800000
	v_mfma_f32_16x16x16_bf16 v[244:247], v[122:123], v[148:149], v[244:247]// 000000006154: D3E100F4 07D3297A
	ds_write_b32 v15, v86 offset:4480                          // 00000000615C: D81A1180 0000560F
	ds_write_b32 v15, v87 offset:5536                          // 000000006164: D81A15A0 0000570F
	s_barrier                                                  // 00000000616C: BF8A0000
	v_mfma_f32_16x16x16_bf16 a[160:163], a[144:145], v[72:73], a[160:163]// 000000006170: D3E180A0 0E829190
	global_atomic_pk_add_bf16 v6, v136, s[32:33]               // 000000006178: DD488000 00208806
	v_mfma_f32_16x16x16_bf16 a[164:167], a[146:147], v[72:73], a[164:167]// 000000006180: D3E180A4 0E929192
	ds_read_b32 v124, v23 offset:51200                         // 000000006188: D86CC800 7C000017
	ds_read_b32 v150, v23 offset:51456                         // 000000006190: D86CC900 96000017
	v_mfma_f32_16x16x16_bf16 a[168:171], a[148:149], v[72:73], a[168:171]// 000000006198: D3E180A8 0EA29194
	s_waitcnt lgkmcnt(6)                                       // 0000000061A0: BF8CC67F
	s_barrier                                                  // 0000000061A4: BF8A0000
	v_mfma_f32_16x16x16_bf16 a[172:175], a[150:151], v[72:73], a[172:175]// 0000000061A8: D3E180AC 0EB29196
	ds_read_b128 v[48:51], v19 offset:17408                    // 0000000061B0: D9FE4400 30000013
	v_mfma_f32_16x16x16_bf16 a[176:179], a[152:153], v[72:73], a[176:179]// 0000000061B8: D3E180B0 0EC29198
	v_mfma_f32_16x16x16_bf16 a[180:183], a[154:155], v[72:73], a[180:183]// 0000000061C0: D3E180B4 0ED2919A
	ds_read_b128 v[52:55], v19 offset:18560                    // 0000000061C8: D9FE4880 34000013
	v_mfma_f32_16x16x16_bf16 a[184:187], a[156:157], v[72:73], a[184:187]// 0000000061D0: D3E180B8 0EE2919C
	global_atomic_pk_add_bf16 v8, v137, s[32:33]               // 0000000061D8: DD488000 00208908
	v_mfma_f32_16x16x16_bf16 a[188:191], a[158:159], v[72:73], a[188:191]// 0000000061E0: D3E180BC 0EF2919E
	ds_read_b128 v[56:59], v19 offset:19712                    // 0000000061E8: D9FE4D00 38000013
	v_mfma_f32_16x16x16_bf16 a[192:195], a[144:145], v[74:75], a[192:195]// 0000000061F0: D3E180C0 0F029590
	v_mfma_f32_16x16x16_bf16 a[196:199], a[146:147], v[74:75], a[196:199]// 0000000061F8: D3E180C4 0F129592
	ds_read_b128 v[60:63], v19 offset:20864                    // 000000006200: D9FE5180 3C000013
	v_mfma_f32_16x16x16_bf16 a[200:203], a[148:149], v[74:75], a[200:203]// 000000006208: D3E180C8 0F229594
	v_mfma_f32_16x16x16_bf16 a[204:207], a[150:151], v[74:75], a[204:207]// 000000006210: D3E180CC 0F329596
	ds_read_b128 v[64:67], v19 offset:22016                    // 000000006218: D9FE5600 40000013
	v_mfma_f32_16x16x16_bf16 a[208:211], a[152:153], v[74:75], a[208:211]// 000000006220: D3E180D0 0F429598
	global_atomic_pk_add_bf16 v6, v138, s[32:33] offset:128    // 000000006228: DD488080 00208A06
	v_mfma_f32_16x16x16_bf16 a[212:215], a[154:155], v[74:75], a[212:215]// 000000006230: D3E180D4 0F52959A
	ds_read_b128 v[68:71], v19 offset:23168                    // 000000006238: D9FE5A80 44000013
	v_mfma_f32_16x16x16_bf16 a[216:219], a[156:157], v[74:75], a[216:219]// 000000006240: D3E180D8 0F62959C
	v_mfma_f32_16x16x16_bf16 a[220:223], a[158:159], v[74:75], a[220:223]// 000000006248: D3E180DC 0F72959E
	ds_write_b32 v15, v88 offset:13056                         // 000000006250: D81A3300 0000580F
	v_mfma_f32_16x16x16_bf16 a[224:227], a[144:145], v[76:77], a[224:227]// 000000006258: D3E180E0 0F829990
	v_mfma_f32_16x16x16_bf16 a[228:231], a[146:147], v[76:77], a[228:231]// 000000006260: D3E180E4 0F929992
	ds_write_b32 v15, v89 offset:14112                         // 000000006268: D81A3720 0000590F
	v_mfma_f32_16x16x16_bf16 a[232:235], a[148:149], v[76:77], a[232:235]// 000000006270: D3E180E8 0FA29994
	global_atomic_pk_add_bf16 v8, v139, s[32:33] offset:128    // 000000006278: DD488080 00208B08
	v_mfma_f32_16x16x16_bf16 a[236:239], a[150:151], v[76:77], a[236:239]// 000000006280: D3E180EC 0FB29996
	ds_write_b32 v15, v90 offset:13184                         // 000000006288: D81A3380 00005A0F
	v_mfma_f32_16x16x16_bf16 a[240:243], a[152:153], v[76:77], a[240:243]// 000000006290: D3E180F0 0FC29998
	v_mfma_f32_16x16x16_bf16 a[244:247], a[154:155], v[76:77], a[244:247]// 000000006298: D3E180F4 0FD2999A
	ds_write_b32 v15, v91 offset:14240                         // 0000000062A0: D81A37A0 00005B0F
	v_mfma_f32_16x16x16_bf16 a[248:251], a[156:157], v[76:77], a[248:251]// 0000000062A8: D3E180F8 0FE2999C
	v_mfma_f32_16x16x16_bf16 a[252:255], a[158:159], v[76:77], a[252:255]// 0000000062B0: D3E180FC 0FF2999E
	s_waitcnt vmcnt(4) lgkmcnt(4)                              // 0000000062B8: BF8C0474
	s_barrier                                                  // 0000000062BC: BF8A0000
	v_mfma_f32_16x16x16_bf16 v[128:131], a[48:49], v[48:49], 0 // 0000000062C0: D3E10080 0A026130
	v_mul_f32_e32 v124, s49, v124                              // 0000000062C8: 0AF8F831
	s_nop 0                                                    // 0000000062CC: BF800000
	v_mfma_f32_16x16x16_bf16 v[128:131], a[52:53], v[50:51], v[128:131]// 0000000062D0: D3E10080 0E026534
	ds_read_b128 a[144:147], v12                               // 0000000062D8: DBFE0000 9000000C
	buffer_load_dword v36, v1, s[8:11], 0 idxen                // 0000000062E0: E0502000 80022401
	v_mfma_f32_16x16x16_bf16 v[128:131], a[56:57], v[52:53], v[128:131]// 0000000062E8: D3E10080 0E026938
	v_mfma_f32_16x16x16_bf16 v[128:131], a[60:61], v[54:55], v[128:131]// 0000000062F0: D3E10080 0E026D3C
	ds_read_b128 a[148:151], v12 offset:512                    // 0000000062F8: DBFE0200 9400000C
	buffer_load_dword v37, v2, s[8:11], 0 idxen                // 000000006300: E0502000 80022502
	v_mfma_f32_16x16x16_bf16 v[128:131], a[64:65], v[56:57], v[128:131]// 000000006308: D3E10080 0E027140
	v_perm_b32 v84, v33, v32, s63                              // 000000006310: D1ED0054 00FE4121
	v_perm_b32 v85, v33, v32, s64                              // 000000006318: D1ED0055 01024121
	v_mfma_f32_16x16x16_bf16 v[128:131], a[68:69], v[58:59], v[128:131]// 000000006320: D3E10080 0E027544
	ds_read_b128 a[152:155], v12 offset:2176                   // 000000006328: DBFE0880 9800000C
	buffer_load_dword v38, v3, s[8:11], 0 idxen                // 000000006330: E0502000 80022603
	v_mfma_f32_16x16x16_bf16 v[128:131], a[72:73], v[60:61], v[128:131]// 000000006338: D3E10080 0E027948
	v_perm_b32 v86, v35, v34, s63                              // 000000006340: D1ED0056 00FE4523
	v_perm_b32 v87, v35, v34, s64                              // 000000006348: D1ED0057 01024523
	v_mfma_f32_16x16x16_bf16 v[128:131], a[76:77], v[62:63], v[128:131]// 000000006350: D3E10080 0E027D4C
	ds_read_b128 a[156:159], v12 offset:2688                   // 000000006358: DBFE0A80 9C00000C
	buffer_load_dword v39, v4, s[8:11], 0 idxen                // 000000006360: E0502000 80022704
	v_mfma_f32_16x16x16_bf16 v[128:131], a[80:81], v[64:65], v[128:131]// 000000006368: D3E10080 0E028150
	v_perm_b32 v88, v41, v40, s63                              // 000000006370: D1ED0058 00FE5129
	v_perm_b32 v89, v41, v40, s64                              // 000000006378: D1ED0059 01025129
	v_mfma_f32_16x16x16_bf16 v[128:131], a[84:85], v[66:67], v[128:131]// 000000006380: D3E10080 0E028554
	ds_read_b128 v[92:95], v12 offset:8704                     // 000000006388: D9FE2200 5C00000C
	buffer_load_dword v44, v1, s[20:23], 0 idxen               // 000000006390: E0502000 80052C01
	v_mfma_f32_16x16x16_bf16 v[128:131], a[88:89], v[68:69], v[128:131]// 000000006398: D3E10080 0E028958
	v_perm_b32 v90, v43, v42, s63                              // 0000000063A0: D1ED005A 00FE552B
	v_perm_b32 v91, v43, v42, s64                              // 0000000063A8: D1ED005B 0102552B
	v_mfma_f32_16x16x16_bf16 v[128:131], a[92:93], v[70:71], v[128:131]// 0000000063B0: D3E10080 0E028D5C
	ds_read_b128 v[96:99], v12 offset:9216                     // 0000000063B8: D9FE2400 6000000C
	buffer_load_dword v45, v2, s[20:23], 0 idxen               // 0000000063C0: E0502000 80052D02
	v_mfma_f32_16x16x16_bf16 v[132:135], a[50:51], v[48:49], 0 // 0000000063C8: D3E10084 0A026132
	v_mov_b32_dpp v127, v124 quad_perm:[3,3,3,3] row_mask:0xf bank_mask:0xf// 0000000063D0: 7EFE02FA FF00FF7C
	v_mov_b32_dpp v126, v124 quad_perm:[2,2,2,2] row_mask:0xf bank_mask:0xf// 0000000063D8: 7EFC02FA FF00AA7C
	v_mfma_f32_16x16x16_bf16 v[132:135], a[54:55], v[50:51], v[132:135]// 0000000063E0: D3E10084 0E126536
	ds_read_b128 v[100:103], v12 offset:10880                  // 0000000063E8: D9FE2A80 6400000C
	buffer_load_dword v46, v3, s[20:23], 0 idxen               // 0000000063F0: E0502000 80052E03
	v_mfma_f32_16x16x16_bf16 v[132:135], a[58:59], v[52:53], v[132:135]// 0000000063F8: D3E10084 0E12693A
	v_mov_b32_dpp v125, v124 quad_perm:[1,1,1,1] row_mask:0xf bank_mask:0xf// 000000006400: 7EFA02FA FF00557C
	v_mov_b32_dpp v124, v124 quad_perm:[0,0,0,0] row_mask:0xf bank_mask:0xf// 000000006408: 7EF802FA FF00007C
	s_add_u32 s60, 64, s59                                     // 000000006410: 803C3BC0
	v_mfma_f32_16x16x16_bf16 v[132:135], a[62:63], v[54:55], v[132:135]// 000000006414: D3E10084 0E126D3E
	ds_read_b128 v[104:107], v12 offset:11392                  // 00000000641C: D9FE2C80 6800000C
	buffer_load_dword v47, v4, s[20:23], 0 idxen               // 000000006424: E0502000 80052F04
	v_mfma_f32_16x16x16_bf16 v[132:135], a[66:67], v[56:57], v[132:135]// 00000000642C: D3E10084 0E127142
	s_cmp_lt_u32 s60, s58                                      // 000000006434: BF0A3A3C
	s_cselect_b32 s68, s68, 0                                  // 000000006438: 85448044
	s_cselect_b32 s69, s69, 0                                  // 00000000643C: 85458045
	v_mfma_f32_16x16x16_bf16 v[132:135], a[70:71], v[58:59], v[132:135]// 000000006440: D3E10084 0E127546
	buffer_load_dword v11, s[24:27], 0 idxen lds               // 000000006448: E0512000 8006000B
	v_mfma_f32_16x16x16_bf16 v[132:135], a[74:75], v[60:61], v[132:135]// 000000006450: D3E10084 0E12794A
	s_add_u32 s8, s68, s8                                      // 000000006458: 80080844
	s_addc_u32 s9, 0, s9                                       // 00000000645C: 82090980
	v_mfma_f32_16x16x16_bf16 v[132:135], a[78:79], v[62:63], v[132:135]// 000000006460: D3E10084 0E127D4E
	s_add_u32 s20, s68, s20                                    // 000000006468: 80141444
	s_addc_u32 s21, 0, s21                                     // 00000000646C: 82151580
	v_mfma_f32_16x16x16_bf16 v[132:135], a[82:83], v[64:65], v[132:135]// 000000006470: D3E10084 0E128152
	s_mov_b32 m0, s76                                          // 000000006478: BEFC004C
	v_add_u32_e32 v11, s69, v11                                // 00000000647C: 68161645
	v_mfma_f32_16x16x16_bf16 v[132:135], a[86:87], v[66:67], v[132:135]// 000000006480: D3E10084 0E128556
	s_cmp_ge_u32 s59, 16                                       // 000000006488: BF09903B
	s_cselect_b32 s66, s67, s66                                // 00000000648C: 85424243
	v_mfma_f32_16x16x16_bf16 v[132:135], a[90:91], v[68:69], v[132:135]// 000000006490: D3E10084 0E12895A
	s_addk_i32 s59, 0x10                                       // 000000006498: B73B0010
	s_nop 0                                                    // 00000000649C: BF800000
	s_cmp_lt_i32 s59, s58                                      // 0000000064A0: BF043A3B
	v_mfma_f32_16x16x16_bf16 v[132:135], a[94:95], v[70:71], v[132:135]// 0000000064A4: D3E10084 0E128D5E
	s_cbranch_scc0 label_0BF2                                  // 0000000064AC: BF840246
	s_waitcnt lgkmcnt(4)                                       // 0000000064B0: BF8CC47F
	s_barrier                                                  // 0000000064B4: BF8A0000
	v_mfma_f32_16x16x16_bf16 v[48:51], a[144:145], a[0:1], 0   // 0000000064B8: D3E10030 1A020190
	ds_write_b32 v13, v40 offset:8704                          // 0000000064C0: D81A2200 0000280D
	ds_write_b32 v13, v41 offset:9760                          // 0000000064C8: D81A2620 0000290D
	v_mfma_f32_16x16x16_bf16 v[48:51], a[146:147], a[2:3], v[48:51]// 0000000064D0: D3E10030 1CC20592
	v_mul_f32_e32 v128, s48, v128                              // 0000000064D8: 0B010030
	v_mul_f32_e32 v129, s48, v129                              // 0000000064DC: 0B030230
	v_mfma_f32_16x16x16_bf16 v[48:51], a[148:149], a[4:5], v[48:51]// 0000000064E0: D3E10030 1CC20994
	ds_write_b32 v13, v42 offset:8832                          // 0000000064E8: D81A2280 00002A0D
	ds_write_b32 v13, v43 offset:9888                          // 0000000064F0: D81A26A0 00002B0D
	v_mfma_f32_16x16x16_bf16 v[48:51], a[150:151], a[6:7], v[48:51]// 0000000064F8: D3E10030 1CC20D96
	v_mul_f32_e32 v130, s48, v130                              // 000000006500: 0B050430
	v_mul_f32_e32 v131, s48, v131                              // 000000006504: 0B070630
	v_mfma_f32_16x16x16_bf16 v[48:51], a[152:153], a[8:9], v[48:51]// 000000006508: D3E10030 1CC21198
	v_mul_f32_e32 v132, s48, v132                              // 000000006510: 0B090830
	v_mul_f32_e32 v133, s48, v133                              // 000000006514: 0B0B0A30
	v_mfma_f32_16x16x16_bf16 v[48:51], a[154:155], a[10:11], v[48:51]// 000000006518: D3E10030 1CC2159A
	v_mul_f32_e32 v134, s48, v134                              // 000000006520: 0B0D0C30
	v_mul_f32_e32 v135, s48, v135                              // 000000006524: 0B0F0E30
	v_mfma_f32_16x16x16_bf16 v[48:51], a[156:157], a[12:13], v[48:51]// 000000006528: D3E10030 1CC2199C
	v_perm_b32 v128, v129, v128, s64                           // 000000006530: D1ED0080 01030181
	v_perm_b32 v129, v131, v130, s64                           // 000000006538: D1ED0081 01030583
	v_mfma_f32_16x16x16_bf16 v[48:51], a[158:159], a[14:15], v[48:51]// 000000006540: D3E10030 1CC21D9E
	v_perm_b32 v130, v133, v132, s64                           // 000000006548: D1ED0082 01030985
	v_perm_b32 v131, v135, v134, s64                           // 000000006550: D1ED0083 01030D87
	v_mfma_f32_16x16x16_bf16 v[52:55], a[144:145], a[16:17], 0 // 000000006558: D3E10034 1A022190
	ds_write_b64 v22, v[128:129] offset:24320                  // 000000006560: D89A5F00 00008016
	v_mfma_f32_16x16x16_bf16 v[52:55], a[146:147], a[18:19], v[52:55]// 000000006568: D3E10034 1CD22592
	v_mfma_f32_16x16x16_bf16 v[52:55], a[148:149], a[20:21], v[52:55]// 000000006570: D3E10034 1CD22994
	ds_write_b64 v22, v[130:131] offset:24864                  // 000000006578: D89A6120 00008216
	v_mfma_f32_16x16x16_bf16 v[52:55], a[150:151], a[22:23], v[52:55]// 000000006580: D3E10034 1CD22D96
	v_mfma_f32_16x16x16_bf16 v[52:55], a[152:153], a[24:25], v[52:55]// 000000006588: D3E10034 1CD23198
	ds_read_b128 v[108:111], v14 offset:13056                  // 000000006590: D9FE3300 6C00000E
	ds_write_b32 v13, v32                                      // 000000006598: D81A0000 0000200D
	v_mfma_f32_16x16x16_bf16 v[52:55], a[154:155], a[26:27], v[52:55]// 0000000065A0: D3E10034 1CD2359A
	v_mfma_f32_16x16x16_bf16 v[52:55], a[156:157], a[28:29], v[52:55]// 0000000065A8: D3E10034 1CD2399C
	v_mfma_f32_16x16x16_bf16 v[52:55], a[158:159], a[30:31], v[52:55]// 0000000065B0: D3E10034 1CD23D9E
	ds_read_b128 v[112:115], v14 offset:13568                  // 0000000065B8: D9FE3500 7000000E
	ds_write_b32 v13, v33 offset:1056                          // 0000000065C0: D81A0420 0000210D
	v_mfma_f32_16x16x16_bf16 v[56:59], a[144:145], a[32:33], 0 // 0000000065C8: D3E10038 1A024190
	v_mfma_f32_16x16x16_bf16 v[56:59], a[146:147], a[34:35], v[56:59]// 0000000065D0: D3E10038 1CE24592
	v_mfma_f32_16x16x16_bf16 v[56:59], a[148:149], a[36:37], v[56:59]// 0000000065D8: D3E10038 1CE24994
	ds_read_b128 v[116:119], v14 offset:15232                  // 0000000065E0: D9FE3B80 7400000E
	ds_write_b32 v13, v34 offset:128                           // 0000000065E8: D81A0080 0000220D
	v_mfma_f32_16x16x16_bf16 v[56:59], a[150:151], a[38:39], v[56:59]// 0000000065F0: D3E10038 1CE24D96
	v_mfma_f32_16x16x16_bf16 v[56:59], a[152:153], a[40:41], v[56:59]// 0000000065F8: D3E10038 1CE25198
	v_mfma_f32_16x16x16_bf16 v[56:59], a[154:155], a[42:43], v[56:59]// 000000006600: D3E10038 1CE2559A
	ds_read_b128 v[120:123], v14 offset:15744                  // 000000006608: D9FE3D80 7800000E
	ds_write_b32 v13, v35 offset:1184                          // 000000006610: D81A04A0 0000230D
	v_mfma_f32_16x16x16_bf16 v[56:59], a[156:157], a[44:45], v[56:59]// 000000006618: D3E10038 1CE2599C
	v_mfma_f32_16x16x16_bf16 v[56:59], a[158:159], a[46:47], v[56:59]// 000000006620: D3E10038 1CE25D9E
	s_cmp_lt_i32 s73, 3                                        // 000000006628: BF048349
	s_cbranch_scc0 label_0A1B                                  // 00000000662C: BF84000F
	s_cmp_eq_i32 s73, 1                                        // 000000006630: BF008149
	s_cbranch_scc1 label_0A11                                  // 000000006634: BF850003
	s_cmp_eq_i32 s73, 2                                        // 000000006638: BF008249
	s_cbranch_scc1 label_0A16                                  // 00000000663C: BF850006
	s_branch label_0A1B                                        // 000000006640: BF82000A

0000000000006644 <label_0A11>:
	v_mov_b32_e32 v52, v151                                    // 000000006644: 7E680397
	v_mov_b32_e32 v53, v151                                    // 000000006648: 7E6A0397
	v_mov_b32_e32 v54, v151                                    // 00000000664C: 7E6C0397
	v_mov_b32_e32 v55, v151                                    // 000000006650: 7E6E0397
	s_branch label_0A16                                        // 000000006654: BF820000

0000000000006658 <label_0A16>:
	v_mov_b32_e32 v56, v151                                    // 000000006658: 7E700397
	v_mov_b32_e32 v57, v151                                    // 00000000665C: 7E720397
	v_mov_b32_e32 v58, v151                                    // 000000006660: 7E740397
	v_mov_b32_e32 v59, v151                                    // 000000006664: 7E760397
	s_branch label_0A1B                                        // 000000006668: BF820000

000000000000666c <label_0A1B>:
	s_waitcnt lgkmcnt(8)                                       // 00000000666C: BF8CC87F
	s_barrier                                                  // 000000006670: BF8A0000
	v_mfma_f32_16x16x16_bf16 v[72:75], v[92:93], a[96:97], 0   // 000000006674: D3E10048 1202C15C
	ds_read_b128 a[144:147], v14 offset:4352                   // 00000000667C: DBFE1100 9000000E
	ds_read_b128 a[148:151], v14 offset:4864                   // 000000006684: DBFE1300 9400000E
	v_mfma_f32_16x16x16_bf16 v[72:75], v[94:95], a[98:99], v[72:75]// 00000000668C: D3E10048 1522C55E
	v_fma_f32 v48, v48, s57, -v124                             // 000000006694: D1CB0030 85F07330
	v_fma_f32 v49, v49, s57, -v125                             // 00000000669C: D1CB0031 85F47331
	v_fma_f32 v50, v50, s57, -v126                             // 0000000066A4: D1CB0032 85F87332
	v_mfma_f32_16x16x16_bf16 v[72:75], v[96:97], a[100:101], v[72:75]// 0000000066AC: D3E10048 1522C960
	v_fma_f32 v51, v51, s57, -v127                             // 0000000066B4: D1CB0033 85FC7333
	v_fma_f32 v52, v52, s57, -v124                             // 0000000066BC: D1CB0034 85F07334
	v_fma_f32 v53, v53, s57, -v125                             // 0000000066C4: D1CB0035 85F47335
	v_mfma_f32_16x16x16_bf16 v[72:75], v[98:99], a[102:103], v[72:75]// 0000000066CC: D3E10048 1522CD62
	v_fma_f32 v54, v54, s57, -v126                             // 0000000066D4: D1CB0036 85F87336
	v_fma_f32 v55, v55, s57, -v127                             // 0000000066DC: D1CB0037 85FC7337
	v_fma_f32 v56, v56, s57, -v124                             // 0000000066E4: D1CB0038 85F07338
	v_mfma_f32_16x16x16_bf16 v[72:75], v[100:101], a[104:105], v[72:75]// 0000000066EC: D3E10048 1522D164
	ds_read_b128 a[152:155], v14 offset:6528                   // 0000000066F4: DBFE1980 9800000E
	ds_read_b128 a[156:159], v14 offset:7040                   // 0000000066FC: DBFE1B80 9C00000E
	v_mfma_f32_16x16x16_bf16 v[72:75], v[102:103], a[106:107], v[72:75]// 000000006704: D3E10048 1522D566
	v_fma_f32 v57, v57, s57, -v125                             // 00000000670C: D1CB0039 85F47339
	v_fma_f32 v58, v58, s57, -v126                             // 000000006714: D1CB003A 85F8733A
	v_fma_f32 v59, v59, s57, -v127                             // 00000000671C: D1CB003B 85FC733B
	v_mfma_f32_16x16x16_bf16 v[72:75], v[104:105], a[108:109], v[72:75]// 000000006724: D3E10048 1522D968
	v_exp_f32_e32 v48, v48                                     // 00000000672C: 7E604130
	v_mfma_f32_16x16x16_bf16 v[72:75], v[106:107], a[110:111], v[72:75]// 000000006730: D3E10048 1522DD6A
	v_exp_f32_e32 v49, v49                                     // 000000006738: 7E624131
	v_mfma_f32_16x16x16_bf16 v[76:79], v[92:93], a[112:113], 0 // 00000000673C: D3E1004C 1202E15C
	ds_read_b32 v136, v21 offset:24320                         // 000000006744: D86C5F00 88000015
	ds_read_b32 v137, v21 offset:24336                         // 00000000674C: D86C5F10 89000015
	v_mfma_f32_16x16x16_bf16 v[76:79], v[94:95], a[114:115], v[76:79]// 000000006754: D3E1004C 1532E55E
	v_exp_f32_e32 v50, v50                                     // 00000000675C: 7E644132
	v_mfma_f32_16x16x16_bf16 v[76:79], v[96:97], a[116:117], v[76:79]// 000000006760: D3E1004C 1532E960
	ds_read_b32 v138, v21 offset:26496                         // 000000006768: D86C6780 8A000015
	ds_read_b32 v139, v21 offset:26512                         // 000000006770: D86C6790 8B000015
	v_mfma_f32_16x16x16_bf16 v[76:79], v[98:99], a[118:119], v[76:79]// 000000006778: D3E1004C 1532ED62
	v_exp_f32_e32 v51, v51                                     // 000000006780: 7E664133
	v_mfma_f32_16x16x16_bf16 v[76:79], v[100:101], a[120:121], v[76:79]// 000000006784: D3E1004C 1532F164
	v_exp_f32_e32 v52, v52                                     // 00000000678C: 7E684134
	v_mfma_f32_16x16x16_bf16 v[76:79], v[102:103], a[122:123], v[76:79]// 000000006790: D3E1004C 1532F566
	v_exp_f32_e32 v53, v53                                     // 000000006798: 7E6A4135
	v_mfma_f32_16x16x16_bf16 v[76:79], v[104:105], a[124:125], v[76:79]// 00000000679C: D3E1004C 1532F968
	v_exp_f32_e32 v54, v54                                     // 0000000067A4: 7E6C4136
	v_mfma_f32_16x16x16_bf16 v[76:79], v[106:107], a[126:127], v[76:79]// 0000000067A8: D3E1004C 1532FD6A
	v_exp_f32_e32 v55, v55                                     // 0000000067B0: 7E6E4137
	v_mfma_f32_16x16x16_bf16 v[80:83], v[92:93], a[128:129], 0 // 0000000067B4: D3E10050 1203015C
	v_exp_f32_e32 v56, v56                                     // 0000000067BC: 7E704138
	v_mfma_f32_16x16x16_bf16 v[80:83], v[94:95], a[130:131], v[80:83]// 0000000067C0: D3E10050 1543055E
	v_exp_f32_e32 v57, v57                                     // 0000000067C8: 7E724139
	v_mfma_f32_16x16x16_bf16 v[80:83], v[96:97], a[132:133], v[80:83]// 0000000067CC: D3E10050 15430960
	v_exp_f32_e32 v58, v58                                     // 0000000067D4: 7E74413A
	v_mfma_f32_16x16x16_bf16 v[80:83], v[98:99], a[134:135], v[80:83]// 0000000067D8: D3E10050 15430D62
	v_exp_f32_e32 v59, v59                                     // 0000000067E0: 7E76413B
	v_mfma_f32_16x16x16_bf16 v[80:83], v[100:101], a[136:137], v[80:83]// 0000000067E4: D3E10050 15431164
	v_perm_b32 v144, v49, v48, s64                             // 0000000067EC: D1ED0090 01026131
	v_perm_b32 v145, v51, v50, s64                             // 0000000067F4: D1ED0091 01026533
	v_perm_b32 v146, v53, v52, s64                             // 0000000067FC: D1ED0092 01026935
	v_mfma_f32_16x16x16_bf16 v[80:83], v[102:103], a[138:139], v[80:83]// 000000006804: D3E10050 15431566
	v_perm_b32 v147, v55, v54, s64                             // 00000000680C: D1ED0093 01026D37
	v_perm_b32 v148, v57, v56, s64                             // 000000006814: D1ED0094 01027139
	v_perm_b32 v149, v59, v58, s64                             // 00000000681C: D1ED0095 0102753B
	v_mfma_f32_16x16x16_bf16 v[80:83], v[104:105], a[140:141], v[80:83]// 000000006824: D3E10050 15431968
	s_add_u32 s32, s66, s32                                    // 00000000682C: 80202042
	s_addc_u32 s33, 0, s33                                     // 000000006830: 82212180
	v_mfma_f32_16x16x16_bf16 v[80:83], v[106:107], a[142:143], v[80:83]// 000000006834: D3E10050 15431D6A
	s_waitcnt lgkmcnt(0)                                       // 00000000683C: BF8CC07F
	s_barrier                                                  // 000000006840: BF8A0000
	v_mfma_f32_16x16x16_bf16 v[152:155], v[108:109], v[144:145], v[152:155]// 000000006844: D3E10098 0663216C
	v_subrev_f32_dpp v72, v150, v72 quad_perm:[0,0,0,0] row_mask:0xf bank_mask:0xf// 00000000684C: 069090FA FF000096
	v_subrev_f32_dpp v73, v150, v73 quad_perm:[1,1,1,1] row_mask:0xf bank_mask:0xf// 000000006854: 069292FA FF005596
	v_subrev_f32_dpp v74, v150, v74 quad_perm:[2,2,2,2] row_mask:0xf bank_mask:0xf// 00000000685C: 069494FA FF00AA96
	v_mfma_f32_16x16x16_bf16 v[156:159], v[110:111], v[144:145], v[156:159]// 000000006864: D3E1009C 0673216E
	v_subrev_f32_dpp v75, v150, v75 quad_perm:[3,3,3,3] row_mask:0xf bank_mask:0xf// 00000000686C: 069696FA FF00FF96
	v_subrev_f32_dpp v76, v150, v76 quad_perm:[0,0,0,0] row_mask:0xf bank_mask:0xf// 000000006874: 069898FA FF000096
	v_subrev_f32_dpp v77, v150, v77 quad_perm:[1,1,1,1] row_mask:0xf bank_mask:0xf// 00000000687C: 069A9AFA FF005596
	v_mfma_f32_16x16x16_bf16 v[160:163], v[112:113], v[144:145], v[160:163]// 000000006884: D3E100A0 06832170
	v_mul_f32_e32 v72, v48, v72                                // 00000000688C: 0A909130
	v_mul_f32_e32 v73, v49, v73                                // 000000006890: 0A929331
	v_mul_f32_e32 v74, v50, v74                                // 000000006894: 0A949532
	v_mfma_f32_16x16x16_bf16 v[164:167], v[114:115], v[144:145], v[164:167]// 000000006898: D3E100A4 06932172
	v_mul_f32_e32 v75, v51, v75                                // 0000000068A0: 0A969733
	v_mul_f32_e32 v76, v52, v76                                // 0000000068A4: 0A989934
	v_mul_f32_e32 v77, v53, v77                                // 0000000068A8: 0A9A9B35
	v_mfma_f32_16x16x16_bf16 v[168:171], v[116:117], v[144:145], v[168:171]// 0000000068AC: D3E100A8 06A32174
	v_perm_b32 v72, v73, v72, s64                              // 0000000068B4: D1ED0048 01029149
	v_perm_b32 v73, v75, v74, s64                              // 0000000068BC: D1ED0049 0102954B
	v_perm_b32 v74, v77, v76, s64                              // 0000000068C4: D1ED004A 0102994D
	v_mfma_f32_16x16x16_bf16 v[172:175], v[118:119], v[144:145], v[172:175]// 0000000068CC: D3E100AC 06B32176
	v_mov_b32_dpp v18, v72 quad_perm:[1,0,3,2] row_mask:0xf bank_mask:0xf// 0000000068D4: 7E2402FA FF00B148
	v_perm_b32 v48, v18, v72, v17                              // 0000000068DC: D1ED0030 04469112
	v_mov_b32_dpp v18, v73 quad_perm:[1,0,3,2] row_mask:0xf bank_mask:0xf// 0000000068E4: 7E2402FA FF00B149
	v_mfma_f32_16x16x16_bf16 v[176:179], v[120:121], v[144:145], v[176:179]// 0000000068EC: D3E100B0 06C32178
	v_perm_b32 v49, v18, v73, v17                              // 0000000068F4: D1ED0031 04469312
	v_mov_b32_dpp v18, v74 quad_perm:[1,0,3,2] row_mask:0xf bank_mask:0xf// 0000000068FC: 7E2402FA FF00B14A
	v_perm_b32 v50, v18, v74, v17                              // 000000006904: D1ED0032 04469512
	v_mfma_f32_16x16x16_bf16 v[180:183], v[122:123], v[144:145], v[180:183]// 00000000690C: D3E100B4 06D3217A
	ds_write_b32 v20, v48 offset:17408                         // 000000006914: D81A4400 00003014
	v_mfma_f32_16x16x16_bf16 v[184:187], v[108:109], v[146:147], v[184:187]// 00000000691C: D3E100B8 06E3256C
	v_subrev_f32_dpp v78, v150, v78 quad_perm:[2,2,2,2] row_mask:0xf bank_mask:0xf// 000000006924: 069C9CFA FF00AA96
	v_subrev_f32_dpp v79, v150, v79 quad_perm:[3,3,3,3] row_mask:0xf bank_mask:0xf// 00000000692C: 069E9EFA FF00FF96
	v_subrev_f32_dpp v80, v150, v80 quad_perm:[0,0,0,0] row_mask:0xf bank_mask:0xf// 000000006934: 06A0A0FA FF000096
	v_mfma_f32_16x16x16_bf16 v[188:191], v[110:111], v[146:147], v[188:191]// 00000000693C: D3E100BC 06F3256E
	ds_write_b32 v20, v49 offset:17952                         // 000000006944: D81A4620 00003114
	v_mfma_f32_16x16x16_bf16 v[192:195], v[112:113], v[146:147], v[192:195]// 00000000694C: D3E100C0 07032570
	v_subrev_f32_dpp v81, v150, v81 quad_perm:[1,1,1,1] row_mask:0xf bank_mask:0xf// 000000006954: 06A2A2FA FF005596
	v_subrev_f32_dpp v82, v150, v82 quad_perm:[2,2,2,2] row_mask:0xf bank_mask:0xf// 00000000695C: 06A4A4FA FF00AA96
	v_subrev_f32_dpp v83, v150, v83 quad_perm:[3,3,3,3] row_mask:0xf bank_mask:0xf// 000000006964: 06A6A6FA FF00FF96
	v_mfma_f32_16x16x16_bf16 v[196:199], v[114:115], v[146:147], v[196:199]// 00000000696C: D3E100C4 07132572
	ds_write_b32 v20, v50 offset:19712                         // 000000006974: D81A4D00 00003214
	v_mfma_f32_16x16x16_bf16 v[200:203], v[116:117], v[146:147], v[200:203]// 00000000697C: D3E100C8 07232574
	v_mul_f32_e32 v78, v54, v78                                // 000000006984: 0A9C9D36
	v_mul_f32_e32 v79, v55, v79                                // 000000006988: 0A9E9F37
	v_mul_f32_e32 v80, v56, v80                                // 00000000698C: 0AA0A138
	v_mfma_f32_16x16x16_bf16 v[204:207], v[118:119], v[146:147], v[204:207]// 000000006990: D3E100CC 07332576
	v_mul_f32_e32 v81, v57, v81                                // 000000006998: 0AA2A339
	v_mul_f32_e32 v82, v58, v82                                // 00000000699C: 0AA4A53A
	v_mul_f32_e32 v83, v59, v83                                // 0000000069A0: 0AA6A73B
	v_mfma_f32_16x16x16_bf16 v[208:211], v[120:121], v[146:147], v[208:211]// 0000000069A4: D3E100D0 07432578
	v_perm_b32 v75, v79, v78, s64                              // 0000000069AC: D1ED004B 01029D4F
	v_perm_b32 v76, v81, v80, s64                              // 0000000069B4: D1ED004C 0102A151
	v_perm_b32 v77, v83, v82, s64                              // 0000000069BC: D1ED004D 0102A553
	v_mfma_f32_16x16x16_bf16 v[212:215], v[122:123], v[146:147], v[212:215]// 0000000069C4: D3E100D4 0753257A
	v_mov_b32_dpp v18, v75 quad_perm:[1,0,3,2] row_mask:0xf bank_mask:0xf// 0000000069CC: 7E2402FA FF00B14B
	v_perm_b32 v51, v18, v75, v17                              // 0000000069D4: D1ED0033 04469712
	v_mov_b32_dpp v18, v76 quad_perm:[1,0,3,2] row_mask:0xf bank_mask:0xf// 0000000069DC: 7E2402FA FF00B14C
	v_mfma_f32_16x16x16_bf16 v[216:219], v[108:109], v[148:149], v[216:219]// 0000000069E4: D3E100D8 0763296C
	v_perm_b32 v52, v18, v76, v17                              // 0000000069EC: D1ED0034 04469912
	v_mov_b32_dpp v18, v77 quad_perm:[1,0,3,2] row_mask:0xf bank_mask:0xf// 0000000069F4: 7E2402FA FF00B14D
	v_perm_b32 v53, v18, v77, v17                              // 0000000069FC: D1ED0035 04469B12
	v_mfma_f32_16x16x16_bf16 v[220:223], v[110:111], v[148:149], v[220:223]// 000000006A04: D3E100DC 0773296E
	ds_write_b32 v20, v51 offset:20256                         // 000000006A0C: D81A4F20 00003314
	v_mfma_f32_16x16x16_bf16 v[224:227], v[112:113], v[148:149], v[224:227]// 000000006A14: D3E100E0 07832970
	v_mfma_f32_16x16x16_bf16 v[228:231], v[114:115], v[148:149], v[228:231]// 000000006A1C: D3E100E4 07932972
	ds_write_b32 v20, v52 offset:22016                         // 000000006A24: D81A5600 00003414
	ds_write_b32 v20, v53 offset:22560                         // 000000006A2C: D81A5820 00003514
	v_mfma_f32_16x16x16_bf16 v[232:235], v[116:117], v[148:149], v[232:235]// 000000006A34: D3E100E8 07A32974
	v_mfma_f32_16x16x16_bf16 v[236:239], v[118:119], v[148:149], v[236:239]// 000000006A3C: D3E100EC 07B32976
	ds_write_b32 v15, v84 offset:4352                          // 000000006A44: D81A1100 0000540F
	ds_write_b32 v15, v85 offset:5408                          // 000000006A4C: D81A1520 0000550F
	v_mfma_f32_16x16x16_bf16 v[240:243], v[120:121], v[148:149], v[240:243]// 000000006A54: D3E100F0 07C32978
	s_nop 0                                                    // 000000006A5C: BF800000
	s_nop 0                                                    // 000000006A60: BF800000
	s_nop 0                                                    // 000000006A64: BF800000
	v_mfma_f32_16x16x16_bf16 v[244:247], v[122:123], v[148:149], v[244:247]// 000000006A68: D3E100F4 07D3297A
	ds_write_b32 v15, v86 offset:4480                          // 000000006A70: D81A1180 0000560F
	ds_write_b32 v15, v87 offset:5536                          // 000000006A78: D81A15A0 0000570F
	s_barrier                                                  // 000000006A80: BF8A0000
	v_mfma_f32_16x16x16_bf16 a[160:163], a[144:145], v[72:73], a[160:163]// 000000006A84: D3E180A0 0E829190
	global_atomic_pk_add_bf16 v6, v136, s[32:33]               // 000000006A8C: DD488000 00208806
	v_mfma_f32_16x16x16_bf16 a[164:167], a[146:147], v[72:73], a[164:167]// 000000006A94: D3E180A4 0E929192
	ds_read_b32 v124, v23 offset:50688                         // 000000006A9C: D86CC600 7C000017
	ds_read_b32 v150, v23 offset:50944                         // 000000006AA4: D86CC700 96000017
	v_mfma_f32_16x16x16_bf16 a[168:171], a[148:149], v[72:73], a[168:171]// 000000006AAC: D3E180A8 0EA29194
	s_waitcnt lgkmcnt(6)                                       // 000000006AB4: BF8CC67F
	s_barrier                                                  // 000000006AB8: BF8A0000
	v_mfma_f32_16x16x16_bf16 a[172:175], a[150:151], v[72:73], a[172:175]// 000000006ABC: D3E180AC 0EB29196
	ds_read_b128 v[48:51], v19 offset:17408                    // 000000006AC4: D9FE4400 30000013
	v_mfma_f32_16x16x16_bf16 a[176:179], a[152:153], v[72:73], a[176:179]// 000000006ACC: D3E180B0 0EC29198
	v_mfma_f32_16x16x16_bf16 a[180:183], a[154:155], v[72:73], a[180:183]// 000000006AD4: D3E180B4 0ED2919A
	ds_read_b128 v[52:55], v19 offset:18560                    // 000000006ADC: D9FE4880 34000013
	v_mfma_f32_16x16x16_bf16 a[184:187], a[156:157], v[72:73], a[184:187]// 000000006AE4: D3E180B8 0EE2919C
	global_atomic_pk_add_bf16 v8, v137, s[32:33]               // 000000006AEC: DD488000 00208908
	v_mfma_f32_16x16x16_bf16 a[188:191], a[158:159], v[72:73], a[188:191]// 000000006AF4: D3E180BC 0EF2919E
	ds_read_b128 v[56:59], v19 offset:19712                    // 000000006AFC: D9FE4D00 38000013
	v_mfma_f32_16x16x16_bf16 a[192:195], a[144:145], v[74:75], a[192:195]// 000000006B04: D3E180C0 0F029590
	v_mfma_f32_16x16x16_bf16 a[196:199], a[146:147], v[74:75], a[196:199]// 000000006B0C: D3E180C4 0F129592
	ds_read_b128 v[60:63], v19 offset:20864                    // 000000006B14: D9FE5180 3C000013
	v_mfma_f32_16x16x16_bf16 a[200:203], a[148:149], v[74:75], a[200:203]// 000000006B1C: D3E180C8 0F229594
	v_mfma_f32_16x16x16_bf16 a[204:207], a[150:151], v[74:75], a[204:207]// 000000006B24: D3E180CC 0F329596
	ds_read_b128 v[64:67], v19 offset:22016                    // 000000006B2C: D9FE5600 40000013
	v_mfma_f32_16x16x16_bf16 a[208:211], a[152:153], v[74:75], a[208:211]// 000000006B34: D3E180D0 0F429598
	global_atomic_pk_add_bf16 v6, v138, s[32:33] offset:128    // 000000006B3C: DD488080 00208A06
	v_mfma_f32_16x16x16_bf16 a[212:215], a[154:155], v[74:75], a[212:215]// 000000006B44: D3E180D4 0F52959A
	ds_read_b128 v[68:71], v19 offset:23168                    // 000000006B4C: D9FE5A80 44000013
	v_mfma_f32_16x16x16_bf16 a[216:219], a[156:157], v[74:75], a[216:219]// 000000006B54: D3E180D8 0F62959C
	v_mfma_f32_16x16x16_bf16 a[220:223], a[158:159], v[74:75], a[220:223]// 000000006B5C: D3E180DC 0F72959E
	ds_write_b32 v15, v88 offset:13056                         // 000000006B64: D81A3300 0000580F
	v_mfma_f32_16x16x16_bf16 a[224:227], a[144:145], v[76:77], a[224:227]// 000000006B6C: D3E180E0 0F829990
	v_mfma_f32_16x16x16_bf16 a[228:231], a[146:147], v[76:77], a[228:231]// 000000006B74: D3E180E4 0F929992
	ds_write_b32 v15, v89 offset:14112                         // 000000006B7C: D81A3720 0000590F
	v_mfma_f32_16x16x16_bf16 a[232:235], a[148:149], v[76:77], a[232:235]// 000000006B84: D3E180E8 0FA29994
	global_atomic_pk_add_bf16 v8, v139, s[32:33] offset:128    // 000000006B8C: DD488080 00208B08
	v_mfma_f32_16x16x16_bf16 a[236:239], a[150:151], v[76:77], a[236:239]// 000000006B94: D3E180EC 0FB29996
	ds_write_b32 v15, v90 offset:13184                         // 000000006B9C: D81A3380 00005A0F
	v_mfma_f32_16x16x16_bf16 a[240:243], a[152:153], v[76:77], a[240:243]// 000000006BA4: D3E180F0 0FC29998
	v_mfma_f32_16x16x16_bf16 a[244:247], a[154:155], v[76:77], a[244:247]// 000000006BAC: D3E180F4 0FD2999A
	ds_write_b32 v15, v91 offset:14240                         // 000000006BB4: D81A37A0 00005B0F
	v_mfma_f32_16x16x16_bf16 a[248:251], a[156:157], v[76:77], a[248:251]// 000000006BBC: D3E180F8 0FE2999C
	v_mfma_f32_16x16x16_bf16 a[252:255], a[158:159], v[76:77], a[252:255]// 000000006BC4: D3E180FC 0FF2999E
	s_waitcnt vmcnt(4) lgkmcnt(4)                              // 000000006BCC: BF8C0474
	s_barrier                                                  // 000000006BD0: BF8A0000
	v_mfma_f32_16x16x16_bf16 v[128:131], a[48:49], v[48:49], 0 // 000000006BD4: D3E10080 0A026130
	v_mul_f32_e32 v124, s49, v124                              // 000000006BDC: 0AF8F831
	s_nop 0                                                    // 000000006BE0: BF800000
	v_mfma_f32_16x16x16_bf16 v[128:131], a[52:53], v[50:51], v[128:131]// 000000006BE4: D3E10080 0E026534
	ds_read_b128 a[144:147], v12                               // 000000006BEC: DBFE0000 9000000C
	buffer_load_dword v32, v1, s[8:11], 0 idxen                // 000000006BF4: E0502000 80022001
	v_mfma_f32_16x16x16_bf16 v[128:131], a[56:57], v[52:53], v[128:131]// 000000006BFC: D3E10080 0E026938
	v_mfma_f32_16x16x16_bf16 v[128:131], a[60:61], v[54:55], v[128:131]// 000000006C04: D3E10080 0E026D3C
	ds_read_b128 a[148:151], v12 offset:512                    // 000000006C0C: DBFE0200 9400000C
	buffer_load_dword v33, v2, s[8:11], 0 idxen                // 000000006C14: E0502000 80022102
	v_mfma_f32_16x16x16_bf16 v[128:131], a[64:65], v[56:57], v[128:131]// 000000006C1C: D3E10080 0E027140
	v_perm_b32 v84, v37, v36, s63                              // 000000006C24: D1ED0054 00FE4925
	v_perm_b32 v85, v37, v36, s64                              // 000000006C2C: D1ED0055 01024925
	v_mfma_f32_16x16x16_bf16 v[128:131], a[68:69], v[58:59], v[128:131]// 000000006C34: D3E10080 0E027544
	ds_read_b128 a[152:155], v12 offset:2176                   // 000000006C3C: DBFE0880 9800000C
	buffer_load_dword v34, v3, s[8:11], 0 idxen                // 000000006C44: E0502000 80022203
	v_mfma_f32_16x16x16_bf16 v[128:131], a[72:73], v[60:61], v[128:131]// 000000006C4C: D3E10080 0E027948
	v_perm_b32 v86, v39, v38, s63                              // 000000006C54: D1ED0056 00FE4D27
	v_perm_b32 v87, v39, v38, s64                              // 000000006C5C: D1ED0057 01024D27
	v_mfma_f32_16x16x16_bf16 v[128:131], a[76:77], v[62:63], v[128:131]// 000000006C64: D3E10080 0E027D4C
	ds_read_b128 a[156:159], v12 offset:2688                   // 000000006C6C: DBFE0A80 9C00000C
	buffer_load_dword v35, v4, s[8:11], 0 idxen                // 000000006C74: E0502000 80022304
	v_mfma_f32_16x16x16_bf16 v[128:131], a[80:81], v[64:65], v[128:131]// 000000006C7C: D3E10080 0E028150
	v_perm_b32 v88, v45, v44, s63                              // 000000006C84: D1ED0058 00FE592D
	v_perm_b32 v89, v45, v44, s64                              // 000000006C8C: D1ED0059 0102592D
	v_mfma_f32_16x16x16_bf16 v[128:131], a[84:85], v[66:67], v[128:131]// 000000006C94: D3E10080 0E028554
	ds_read_b128 v[92:95], v12 offset:8704                     // 000000006C9C: D9FE2200 5C00000C
	buffer_load_dword v40, v1, s[20:23], 0 idxen               // 000000006CA4: E0502000 80052801
	v_mfma_f32_16x16x16_bf16 v[128:131], a[88:89], v[68:69], v[128:131]// 000000006CAC: D3E10080 0E028958
	v_perm_b32 v90, v47, v46, s63                              // 000000006CB4: D1ED005A 00FE5D2F
	v_perm_b32 v91, v47, v46, s64                              // 000000006CBC: D1ED005B 01025D2F
	v_mfma_f32_16x16x16_bf16 v[128:131], a[92:93], v[70:71], v[128:131]// 000000006CC4: D3E10080 0E028D5C
	ds_read_b128 v[96:99], v12 offset:9216                     // 000000006CCC: D9FE2400 6000000C
	buffer_load_dword v41, v2, s[20:23], 0 idxen               // 000000006CD4: E0502000 80052902
	v_mfma_f32_16x16x16_bf16 v[132:135], a[50:51], v[48:49], 0 // 000000006CDC: D3E10084 0A026132
	v_mov_b32_dpp v127, v124 quad_perm:[3,3,3,3] row_mask:0xf bank_mask:0xf// 000000006CE4: 7EFE02FA FF00FF7C
	v_mov_b32_dpp v126, v124 quad_perm:[2,2,2,2] row_mask:0xf bank_mask:0xf// 000000006CEC: 7EFC02FA FF00AA7C
	v_mfma_f32_16x16x16_bf16 v[132:135], a[54:55], v[50:51], v[132:135]// 000000006CF4: D3E10084 0E126536
	ds_read_b128 v[100:103], v12 offset:10880                  // 000000006CFC: D9FE2A80 6400000C
	buffer_load_dword v42, v3, s[20:23], 0 idxen               // 000000006D04: E0502000 80052A03
	v_mfma_f32_16x16x16_bf16 v[132:135], a[58:59], v[52:53], v[132:135]// 000000006D0C: D3E10084 0E12693A
	v_mov_b32_dpp v125, v124 quad_perm:[1,1,1,1] row_mask:0xf bank_mask:0xf// 000000006D14: 7EFA02FA FF00557C
	v_mov_b32_dpp v124, v124 quad_perm:[0,0,0,0] row_mask:0xf bank_mask:0xf// 000000006D1C: 7EF802FA FF00007C
	s_add_u32 s60, 64, s59                                     // 000000006D24: 803C3BC0
	v_mfma_f32_16x16x16_bf16 v[132:135], a[62:63], v[54:55], v[132:135]// 000000006D28: D3E10084 0E126D3E
	ds_read_b128 v[104:107], v12 offset:11392                  // 000000006D30: D9FE2C80 6800000C
	buffer_load_dword v43, v4, s[20:23], 0 idxen               // 000000006D38: E0502000 80052B04
	v_mfma_f32_16x16x16_bf16 v[132:135], a[66:67], v[56:57], v[132:135]// 000000006D40: D3E10084 0E127142
	s_cmp_lt_u32 s60, s58                                      // 000000006D48: BF0A3A3C
	s_cselect_b32 s68, s68, 0                                  // 000000006D4C: 85448044
	s_cselect_b32 s69, s69, 0                                  // 000000006D50: 85458045
	v_mfma_f32_16x16x16_bf16 v[132:135], a[70:71], v[58:59], v[132:135]// 000000006D54: D3E10084 0E127546
	buffer_load_dword v11, s[24:27], 0 idxen lds               // 000000006D5C: E0512000 8006000B
	v_mfma_f32_16x16x16_bf16 v[132:135], a[74:75], v[60:61], v[132:135]// 000000006D64: D3E10084 0E12794A
	s_add_u32 s8, s68, s8                                      // 000000006D6C: 80080844
	s_addc_u32 s9, 0, s9                                       // 000000006D70: 82090980
	v_mfma_f32_16x16x16_bf16 v[132:135], a[78:79], v[62:63], v[132:135]// 000000006D74: D3E10084 0E127D4E
	s_add_u32 s20, s68, s20                                    // 000000006D7C: 80141444
	s_addc_u32 s21, 0, s21                                     // 000000006D80: 82151580
	v_mfma_f32_16x16x16_bf16 v[132:135], a[82:83], v[64:65], v[132:135]// 000000006D84: D3E10084 0E128152
	s_mov_b32 m0, s77                                          // 000000006D8C: BEFC004D
	v_add_u32_e32 v11, s69, v11                                // 000000006D90: 68161645
	v_mfma_f32_16x16x16_bf16 v[132:135], a[86:87], v[66:67], v[132:135]// 000000006D94: D3E10084 0E128556
	s_cmp_ge_u32 s59, 16                                       // 000000006D9C: BF09903B
	s_cselect_b32 s66, s67, s66                                // 000000006DA0: 85424243
	v_mfma_f32_16x16x16_bf16 v[132:135], a[90:91], v[68:69], v[132:135]// 000000006DA4: D3E10084 0E12895A
	s_addk_i32 s59, 0x10                                       // 000000006DAC: B73B0010
	s_nop 0                                                    // 000000006DB0: BF800000
	s_cmp_lt_i32 s59, s58                                      // 000000006DB4: BF043A3B
	v_mfma_f32_16x16x16_bf16 v[132:135], a[94:95], v[70:71], v[132:135]// 000000006DB8: D3E10084 0E128D5E
	s_cbranch_scc0 label_0BF2                                  // 000000006DC0: BF840001
	s_branch label_0767                                        // 000000006DC4: BF82FB75

0000000000006dc8 <label_0BF2>:
	s_nop 0                                                    // 000000006DC8: BF800000
	s_nop 0                                                    // 000000006DCC: BF800000
	s_branch label_1080                                        // 000000006DD0: BF82048B

0000000000006dd4 <label_0BF5>:
	s_waitcnt lgkmcnt(4)                                       // 000000006DD4: BF8CC47F
	s_barrier                                                  // 000000006DD8: BF8A0000
	v_mfma_f32_16x16x16_bf16 v[48:51], a[144:145], a[0:1], 0   // 000000006DDC: D3E10030 1A020190
	v_mul_f32_e32 v128, s48, v128                              // 000000006DE4: 0B010030
	v_mul_f32_e32 v129, s48, v129                              // 000000006DE8: 0B030230
	v_mfma_f32_16x16x16_bf16 v[48:51], a[146:147], a[2:3], v[48:51]// 000000006DEC: D3E10030 1CC20592
	ds_write_b32 v13, v44 offset:8704                          // 000000006DF4: D81A2200 00002C0D
	ds_write_b32 v13, v45 offset:9760                          // 000000006DFC: D81A2620 00002D0D
	v_mfma_f32_16x16x16_bf16 v[48:51], a[148:149], a[4:5], v[48:51]// 000000006E04: D3E10030 1CC20994
	v_mul_f32_e32 v130, s48, v130                              // 000000006E0C: 0B050430
	v_mul_f32_e32 v131, s48, v131                              // 000000006E10: 0B070630
	v_mfma_f32_16x16x16_bf16 v[48:51], a[150:151], a[6:7], v[48:51]// 000000006E14: D3E10030 1CC20D96
	ds_write_b32 v13, v46 offset:8832                          // 000000006E1C: D81A2280 00002E0D
	ds_write_b32 v13, v47 offset:9888                          // 000000006E24: D81A26A0 00002F0D
	v_mfma_f32_16x16x16_bf16 v[48:51], a[152:153], a[8:9], v[48:51]// 000000006E2C: D3E10030 1CC21198
	v_mul_f32_e32 v132, s48, v132                              // 000000006E34: 0B090830
	v_mul_f32_e32 v133, s48, v133                              // 000000006E38: 0B0B0A30
	v_mfma_f32_16x16x16_bf16 v[48:51], a[154:155], a[10:11], v[48:51]// 000000006E3C: D3E10030 1CC2159A
	v_mul_f32_e32 v134, s48, v134                              // 000000006E44: 0B0D0C30
	v_mul_f32_e32 v135, s48, v135                              // 000000006E48: 0B0F0E30
	v_mfma_f32_16x16x16_bf16 v[48:51], a[156:157], a[12:13], v[48:51]// 000000006E4C: D3E10030 1CC2199C
	v_perm_b32 v128, v129, v128, s64                           // 000000006E54: D1ED0080 01030181
	v_perm_b32 v129, v131, v130, s64                           // 000000006E5C: D1ED0081 01030583
	v_mfma_f32_16x16x16_bf16 v[48:51], a[158:159], a[14:15], v[48:51]// 000000006E64: D3E10030 1CC21D9E
	v_perm_b32 v130, v133, v132, s64                           // 000000006E6C: D1ED0082 01030985
	v_perm_b32 v131, v135, v134, s64                           // 000000006E74: D1ED0083 01030D87
	v_mfma_f32_16x16x16_bf16 v[52:55], a[144:145], a[16:17], 0 // 000000006E7C: D3E10034 1A022190
	v_mfma_f32_16x16x16_bf16 v[52:55], a[146:147], a[18:19], v[52:55]// 000000006E84: D3E10034 1CD22592
	ds_write_b64 v22, v[128:129] offset:24320                  // 000000006E8C: D89A5F00 00008016
	v_mfma_f32_16x16x16_bf16 v[52:55], a[148:149], a[20:21], v[52:55]// 000000006E94: D3E10034 1CD22994
	v_mfma_f32_16x16x16_bf16 v[52:55], a[150:151], a[22:23], v[52:55]// 000000006E9C: D3E10034 1CD22D96
	ds_write_b64 v22, v[130:131] offset:24864                  // 000000006EA4: D89A6120 00008216
	v_mfma_f32_16x16x16_bf16 v[52:55], a[152:153], a[24:25], v[52:55]// 000000006EAC: D3E10034 1CD23198
	v_mfma_f32_16x16x16_bf16 v[52:55], a[154:155], a[26:27], v[52:55]// 000000006EB4: D3E10034 1CD2359A
	ds_read_b128 v[108:111], v14 offset:13056                  // 000000006EBC: D9FE3300 6C00000E
	ds_write_b32 v13, v36                                      // 000000006EC4: D81A0000 0000240D
	v_mfma_f32_16x16x16_bf16 v[52:55], a[156:157], a[28:29], v[52:55]// 000000006ECC: D3E10034 1CD2399C
	v_mfma_f32_16x16x16_bf16 v[52:55], a[158:159], a[30:31], v[52:55]// 000000006ED4: D3E10034 1CD23D9E
	v_mfma_f32_16x16x16_bf16 v[56:59], a[144:145], a[32:33], 0 // 000000006EDC: D3E10038 1A024190
	ds_read_b128 v[112:115], v14 offset:13568                  // 000000006EE4: D9FE3500 7000000E
	ds_write_b32 v13, v37 offset:1056                          // 000000006EEC: D81A0420 0000250D
	v_mfma_f32_16x16x16_bf16 v[56:59], a[146:147], a[34:35], v[56:59]// 000000006EF4: D3E10038 1CE24592
	v_mfma_f32_16x16x16_bf16 v[56:59], a[148:149], a[36:37], v[56:59]// 000000006EFC: D3E10038 1CE24994
	v_mfma_f32_16x16x16_bf16 v[56:59], a[150:151], a[38:39], v[56:59]// 000000006F04: D3E10038 1CE24D96
	ds_read_b128 v[116:119], v14 offset:15232                  // 000000006F0C: D9FE3B80 7400000E
	ds_write_b32 v13, v38 offset:128                           // 000000006F14: D81A0080 0000260D
	v_mfma_f32_16x16x16_bf16 v[56:59], a[152:153], a[40:41], v[56:59]// 000000006F1C: D3E10038 1CE25198
	v_mfma_f32_16x16x16_bf16 v[56:59], a[154:155], a[42:43], v[56:59]// 000000006F24: D3E10038 1CE2559A
	v_mfma_f32_16x16x16_bf16 v[56:59], a[156:157], a[44:45], v[56:59]// 000000006F2C: D3E10038 1CE2599C
	ds_read_b128 v[120:123], v14 offset:15744                  // 000000006F34: D9FE3D80 7800000E
	ds_write_b32 v13, v39 offset:1184                          // 000000006F3C: D81A04A0 0000270D
	v_mfma_f32_16x16x16_bf16 v[56:59], a[158:159], a[46:47], v[56:59]// 000000006F44: D3E10038 1CE25D9E
	s_cmp_lt_i32 s73, 3                                        // 000000006F4C: BF048349
	s_cbranch_scc0 label_0C64                                  // 000000006F50: BF84000F
	s_cmp_eq_i32 s73, 1                                        // 000000006F54: BF008149
	s_cbranch_scc1 label_0C5A                                  // 000000006F58: BF850003
	s_cmp_eq_i32 s73, 2                                        // 000000006F5C: BF008249
	s_cbranch_scc1 label_0C5F                                  // 000000006F60: BF850006
	s_branch label_0C64                                        // 000000006F64: BF82000A

0000000000006f68 <label_0C5A>:
	v_mov_b32_e32 v52, v151                                    // 000000006F68: 7E680397
	v_mov_b32_e32 v53, v151                                    // 000000006F6C: 7E6A0397
	v_mov_b32_e32 v54, v151                                    // 000000006F70: 7E6C0397
	v_mov_b32_e32 v55, v151                                    // 000000006F74: 7E6E0397
	s_branch label_0C5F                                        // 000000006F78: BF820000

0000000000006f7c <label_0C5F>:
	v_mov_b32_e32 v56, v151                                    // 000000006F7C: 7E700397
	v_mov_b32_e32 v57, v151                                    // 000000006F80: 7E720397
	v_mov_b32_e32 v58, v151                                    // 000000006F84: 7E740397
	v_mov_b32_e32 v59, v151                                    // 000000006F88: 7E760397
	s_branch label_0C64                                        // 000000006F8C: BF820000

0000000000006f90 <label_0C64>:
	s_waitcnt lgkmcnt(8)                                       // 000000006F90: BF8CC87F
	s_barrier                                                  // 000000006F94: BF8A0000
	v_mfma_f32_16x16x16_bf16 v[72:75], v[92:93], a[96:97], 0   // 000000006F98: D3E10048 1202C15C
	v_fma_f32 v48, v48, s57, -v124                             // 000000006FA0: D1CB0030 85F07330
	v_fma_f32 v49, v49, s57, -v125                             // 000000006FA8: D1CB0031 85F47331
	v_fma_f32 v50, v50, s57, -v126                             // 000000006FB0: D1CB0032 85F87332
	v_mfma_f32_16x16x16_bf16 v[72:75], v[94:95], a[98:99], v[72:75]// 000000006FB8: D3E10048 1522C55E
	ds_read_b128 a[144:147], v14 offset:4352                   // 000000006FC0: DBFE1100 9000000E
	ds_read_b128 a[148:151], v14 offset:4864                   // 000000006FC8: DBFE1300 9400000E
	v_mfma_f32_16x16x16_bf16 v[72:75], v[96:97], a[100:101], v[72:75]// 000000006FD0: D3E10048 1522C960
	v_fma_f32 v51, v51, s57, -v127                             // 000000006FD8: D1CB0033 85FC7333
	v_fma_f32 v52, v52, s57, -v124                             // 000000006FE0: D1CB0034 85F07334
	v_fma_f32 v53, v53, s57, -v125                             // 000000006FE8: D1CB0035 85F47335
	v_mfma_f32_16x16x16_bf16 v[72:75], v[98:99], a[102:103], v[72:75]// 000000006FF0: D3E10048 1522CD62
	v_fma_f32 v54, v54, s57, -v126                             // 000000006FF8: D1CB0036 85F87336
	v_fma_f32 v55, v55, s57, -v127                             // 000000007000: D1CB0037 85FC7337
	v_fma_f32 v56, v56, s57, -v124                             // 000000007008: D1CB0038 85F07338
	v_mfma_f32_16x16x16_bf16 v[72:75], v[100:101], a[104:105], v[72:75]// 000000007010: D3E10048 1522D164
	v_fma_f32 v57, v57, s57, -v125                             // 000000007018: D1CB0039 85F47339
	v_fma_f32 v58, v58, s57, -v126                             // 000000007020: D1CB003A 85F8733A
	v_fma_f32 v59, v59, s57, -v127                             // 000000007028: D1CB003B 85FC733B
	v_mfma_f32_16x16x16_bf16 v[72:75], v[102:103], a[106:107], v[72:75]// 000000007030: D3E10048 1522D566
	ds_read_b128 a[152:155], v14 offset:6528                   // 000000007038: DBFE1980 9800000E
	ds_read_b128 a[156:159], v14 offset:7040                   // 000000007040: DBFE1B80 9C00000E
	v_mfma_f32_16x16x16_bf16 v[72:75], v[104:105], a[108:109], v[72:75]// 000000007048: D3E10048 1522D968
	v_exp_f32_e32 v48, v48                                     // 000000007050: 7E604130
	v_mfma_f32_16x16x16_bf16 v[72:75], v[106:107], a[110:111], v[72:75]// 000000007054: D3E10048 1522DD6A
	v_exp_f32_e32 v49, v49                                     // 00000000705C: 7E624131
	v_mfma_f32_16x16x16_bf16 v[76:79], v[92:93], a[112:113], 0 // 000000007060: D3E1004C 1202E15C
	v_exp_f32_e32 v50, v50                                     // 000000007068: 7E644132
	v_mfma_f32_16x16x16_bf16 v[76:79], v[94:95], a[114:115], v[76:79]// 00000000706C: D3E1004C 1532E55E
	ds_read_b32 v136, v21 offset:24320                         // 000000007074: D86C5F00 88000015
	ds_read_b32 v137, v21 offset:24336                         // 00000000707C: D86C5F10 89000015
	v_mfma_f32_16x16x16_bf16 v[76:79], v[96:97], a[116:117], v[76:79]// 000000007084: D3E1004C 1532E960
	v_exp_f32_e32 v51, v51                                     // 00000000708C: 7E664133
	v_mfma_f32_16x16x16_bf16 v[76:79], v[98:99], a[118:119], v[76:79]// 000000007090: D3E1004C 1532ED62
	ds_read_b32 v138, v21 offset:26496                         // 000000007098: D86C6780 8A000015
	ds_read_b32 v139, v21 offset:26512                         // 0000000070A0: D86C6790 8B000015
	v_mfma_f32_16x16x16_bf16 v[76:79], v[100:101], a[120:121], v[76:79]// 0000000070A8: D3E1004C 1532F164
	v_exp_f32_e32 v52, v52                                     // 0000000070B0: 7E684134
	v_mfma_f32_16x16x16_bf16 v[76:79], v[102:103], a[122:123], v[76:79]// 0000000070B4: D3E1004C 1532F566
	v_exp_f32_e32 v53, v53                                     // 0000000070BC: 7E6A4135
	v_mfma_f32_16x16x16_bf16 v[76:79], v[104:105], a[124:125], v[76:79]// 0000000070C0: D3E1004C 1532F968
	v_exp_f32_e32 v54, v54                                     // 0000000070C8: 7E6C4136
	v_mfma_f32_16x16x16_bf16 v[76:79], v[106:107], a[126:127], v[76:79]// 0000000070CC: D3E1004C 1532FD6A
	v_exp_f32_e32 v55, v55                                     // 0000000070D4: 7E6E4137
	v_mfma_f32_16x16x16_bf16 v[80:83], v[92:93], a[128:129], 0 // 0000000070D8: D3E10050 1203015C
	v_exp_f32_e32 v56, v56                                     // 0000000070E0: 7E704138
	v_mfma_f32_16x16x16_bf16 v[80:83], v[94:95], a[130:131], v[80:83]// 0000000070E4: D3E10050 1543055E
	v_exp_f32_e32 v57, v57                                     // 0000000070EC: 7E724139
	v_mfma_f32_16x16x16_bf16 v[80:83], v[96:97], a[132:133], v[80:83]// 0000000070F0: D3E10050 15430960
	v_exp_f32_e32 v58, v58                                     // 0000000070F8: 7E74413A
	v_mfma_f32_16x16x16_bf16 v[80:83], v[98:99], a[134:135], v[80:83]// 0000000070FC: D3E10050 15430D62
	v_exp_f32_e32 v59, v59                                     // 000000007104: 7E76413B
	v_mfma_f32_16x16x16_bf16 v[80:83], v[100:101], a[136:137], v[80:83]// 000000007108: D3E10050 15431164
	v_perm_b32 v144, v49, v48, s64                             // 000000007110: D1ED0090 01026131
	v_perm_b32 v145, v51, v50, s64                             // 000000007118: D1ED0091 01026533
	v_perm_b32 v146, v53, v52, s64                             // 000000007120: D1ED0092 01026935
	v_mfma_f32_16x16x16_bf16 v[80:83], v[102:103], a[138:139], v[80:83]// 000000007128: D3E10050 15431566
	v_perm_b32 v147, v55, v54, s64                             // 000000007130: D1ED0093 01026D37
	v_perm_b32 v148, v57, v56, s64                             // 000000007138: D1ED0094 01027139
	v_perm_b32 v149, v59, v58, s64                             // 000000007140: D1ED0095 0102753B
	v_mfma_f32_16x16x16_bf16 v[80:83], v[104:105], a[140:141], v[80:83]// 000000007148: D3E10050 15431968
	s_add_u32 s32, s66, s32                                    // 000000007150: 80202042
	s_addc_u32 s33, 0, s33                                     // 000000007154: 82212180
	v_mfma_f32_16x16x16_bf16 v[80:83], v[106:107], a[142:143], v[80:83]// 000000007158: D3E10050 15431D6A
	s_waitcnt lgkmcnt(0)                                       // 000000007160: BF8CC07F
	s_barrier                                                  // 000000007164: BF8A0000
	v_mfma_f32_16x16x16_bf16 v[152:155], v[108:109], v[144:145], v[152:155]// 000000007168: D3E10098 0663216C
	v_subrev_f32_dpp v72, v150, v72 quad_perm:[0,0,0,0] row_mask:0xf bank_mask:0xf// 000000007170: 069090FA FF000096
	v_subrev_f32_dpp v73, v150, v73 quad_perm:[1,1,1,1] row_mask:0xf bank_mask:0xf// 000000007178: 069292FA FF005596
	v_subrev_f32_dpp v74, v150, v74 quad_perm:[2,2,2,2] row_mask:0xf bank_mask:0xf// 000000007180: 069494FA FF00AA96
	v_mfma_f32_16x16x16_bf16 v[156:159], v[110:111], v[144:145], v[156:159]// 000000007188: D3E1009C 0673216E
	v_subrev_f32_dpp v75, v150, v75 quad_perm:[3,3,3,3] row_mask:0xf bank_mask:0xf// 000000007190: 069696FA FF00FF96
	v_subrev_f32_dpp v76, v150, v76 quad_perm:[0,0,0,0] row_mask:0xf bank_mask:0xf// 000000007198: 069898FA FF000096
	v_subrev_f32_dpp v77, v150, v77 quad_perm:[1,1,1,1] row_mask:0xf bank_mask:0xf// 0000000071A0: 069A9AFA FF005596
	v_mfma_f32_16x16x16_bf16 v[160:163], v[112:113], v[144:145], v[160:163]// 0000000071A8: D3E100A0 06832170
	v_mul_f32_e32 v72, v48, v72                                // 0000000071B0: 0A909130
	v_mul_f32_e32 v73, v49, v73                                // 0000000071B4: 0A929331
	v_mul_f32_e32 v74, v50, v74                                // 0000000071B8: 0A949532
	v_mfma_f32_16x16x16_bf16 v[164:167], v[114:115], v[144:145], v[164:167]// 0000000071BC: D3E100A4 06932172
	v_mul_f32_e32 v75, v51, v75                                // 0000000071C4: 0A969733
	v_mul_f32_e32 v76, v52, v76                                // 0000000071C8: 0A989934
	v_mul_f32_e32 v77, v53, v77                                // 0000000071CC: 0A9A9B35
	v_mfma_f32_16x16x16_bf16 v[168:171], v[116:117], v[144:145], v[168:171]// 0000000071D0: D3E100A8 06A32174
	v_perm_b32 v72, v73, v72, s64                              // 0000000071D8: D1ED0048 01029149
	v_perm_b32 v73, v75, v74, s64                              // 0000000071E0: D1ED0049 0102954B
	v_perm_b32 v74, v77, v76, s64                              // 0000000071E8: D1ED004A 0102994D
	v_mfma_f32_16x16x16_bf16 v[172:175], v[118:119], v[144:145], v[172:175]// 0000000071F0: D3E100AC 06B32176
	v_mov_b32_dpp v18, v72 quad_perm:[1,0,3,2] row_mask:0xf bank_mask:0xf// 0000000071F8: 7E2402FA FF00B148
	v_perm_b32 v48, v18, v72, v17                              // 000000007200: D1ED0030 04469112
	v_mov_b32_dpp v18, v73 quad_perm:[1,0,3,2] row_mask:0xf bank_mask:0xf// 000000007208: 7E2402FA FF00B149
	v_mfma_f32_16x16x16_bf16 v[176:179], v[120:121], v[144:145], v[176:179]// 000000007210: D3E100B0 06C32178
	ds_write_b32 v20, v48 offset:17408                         // 000000007218: D81A4400 00003014
	v_mfma_f32_16x16x16_bf16 v[180:183], v[122:123], v[144:145], v[180:183]// 000000007220: D3E100B4 06D3217A
	v_perm_b32 v49, v18, v73, v17                              // 000000007228: D1ED0031 04469312
	v_mov_b32_dpp v18, v74 quad_perm:[1,0,3,2] row_mask:0xf bank_mask:0xf// 000000007230: 7E2402FA FF00B14A
	v_perm_b32 v50, v18, v74, v17                              // 000000007238: D1ED0032 04469512
	v_mfma_f32_16x16x16_bf16 v[184:187], v[108:109], v[146:147], v[184:187]// 000000007240: D3E100B8 06E3256C
	ds_write_b32 v20, v49 offset:17952                         // 000000007248: D81A4620 00003114
	v_mfma_f32_16x16x16_bf16 v[188:191], v[110:111], v[146:147], v[188:191]// 000000007250: D3E100BC 06F3256E
	v_subrev_f32_dpp v78, v150, v78 quad_perm:[2,2,2,2] row_mask:0xf bank_mask:0xf// 000000007258: 069C9CFA FF00AA96
	v_subrev_f32_dpp v79, v150, v79 quad_perm:[3,3,3,3] row_mask:0xf bank_mask:0xf// 000000007260: 069E9EFA FF00FF96
	v_subrev_f32_dpp v80, v150, v80 quad_perm:[0,0,0,0] row_mask:0xf bank_mask:0xf// 000000007268: 06A0A0FA FF000096
	v_mfma_f32_16x16x16_bf16 v[192:195], v[112:113], v[146:147], v[192:195]// 000000007270: D3E100C0 07032570
	ds_write_b32 v20, v50 offset:19712                         // 000000007278: D81A4D00 00003214
	v_mfma_f32_16x16x16_bf16 v[196:199], v[114:115], v[146:147], v[196:199]// 000000007280: D3E100C4 07132572
	v_subrev_f32_dpp v81, v150, v81 quad_perm:[1,1,1,1] row_mask:0xf bank_mask:0xf// 000000007288: 06A2A2FA FF005596
	v_subrev_f32_dpp v82, v150, v82 quad_perm:[2,2,2,2] row_mask:0xf bank_mask:0xf// 000000007290: 06A4A4FA FF00AA96
	v_subrev_f32_dpp v83, v150, v83 quad_perm:[3,3,3,3] row_mask:0xf bank_mask:0xf// 000000007298: 06A6A6FA FF00FF96
	v_mfma_f32_16x16x16_bf16 v[200:203], v[116:117], v[146:147], v[200:203]// 0000000072A0: D3E100C8 07232574
	v_mul_f32_e32 v78, v54, v78                                // 0000000072A8: 0A9C9D36
	v_mul_f32_e32 v79, v55, v79                                // 0000000072AC: 0A9E9F37
	v_mul_f32_e32 v80, v56, v80                                // 0000000072B0: 0AA0A138
	v_mfma_f32_16x16x16_bf16 v[204:207], v[118:119], v[146:147], v[204:207]// 0000000072B4: D3E100CC 07332576
	v_mul_f32_e32 v81, v57, v81                                // 0000000072BC: 0AA2A339
	v_mul_f32_e32 v82, v58, v82                                // 0000000072C0: 0AA4A53A
	v_mul_f32_e32 v83, v59, v83                                // 0000000072C4: 0AA6A73B
	v_mfma_f32_16x16x16_bf16 v[208:211], v[120:121], v[146:147], v[208:211]// 0000000072C8: D3E100D0 07432578
	v_perm_b32 v75, v79, v78, s64                              // 0000000072D0: D1ED004B 01029D4F
	v_perm_b32 v76, v81, v80, s64                              // 0000000072D8: D1ED004C 0102A151
	v_perm_b32 v77, v83, v82, s64                              // 0000000072E0: D1ED004D 0102A553
	v_mfma_f32_16x16x16_bf16 v[212:215], v[122:123], v[146:147], v[212:215]// 0000000072E8: D3E100D4 0753257A
	v_mov_b32_dpp v18, v75 quad_perm:[1,0,3,2] row_mask:0xf bank_mask:0xf// 0000000072F0: 7E2402FA FF00B14B
	v_perm_b32 v51, v18, v75, v17                              // 0000000072F8: D1ED0033 04469712
	v_mov_b32_dpp v18, v76 quad_perm:[1,0,3,2] row_mask:0xf bank_mask:0xf// 000000007300: 7E2402FA FF00B14C
	v_mfma_f32_16x16x16_bf16 v[216:219], v[108:109], v[148:149], v[216:219]// 000000007308: D3E100D8 0763296C
	ds_write_b32 v20, v51 offset:20256                         // 000000007310: D81A4F20 00003314
	v_mfma_f32_16x16x16_bf16 v[220:223], v[110:111], v[148:149], v[220:223]// 000000007318: D3E100DC 0773296E
	v_perm_b32 v52, v18, v76, v17                              // 000000007320: D1ED0034 04469912
	v_mov_b32_dpp v18, v77 quad_perm:[1,0,3,2] row_mask:0xf bank_mask:0xf// 000000007328: 7E2402FA FF00B14D
	v_perm_b32 v53, v18, v77, v17                              // 000000007330: D1ED0035 04469B12
	v_mfma_f32_16x16x16_bf16 v[224:227], v[112:113], v[148:149], v[224:227]// 000000007338: D3E100E0 07832970
	ds_write_b32 v20, v52 offset:22016                         // 000000007340: D81A5600 00003414
	ds_write_b32 v20, v53 offset:22560                         // 000000007348: D81A5820 00003514
	v_mfma_f32_16x16x16_bf16 v[228:231], v[114:115], v[148:149], v[228:231]// 000000007350: D3E100E4 07932972
	v_mfma_f32_16x16x16_bf16 v[232:235], v[116:117], v[148:149], v[232:235]// 000000007358: D3E100E8 07A32974
	ds_write_b32 v15, v84 offset:4352                          // 000000007360: D81A1100 0000540F
	ds_write_b32 v15, v85 offset:5408                          // 000000007368: D81A1520 0000550F
	v_mfma_f32_16x16x16_bf16 v[236:239], v[118:119], v[148:149], v[236:239]// 000000007370: D3E100EC 07B32976
	v_mfma_f32_16x16x16_bf16 v[240:243], v[120:121], v[148:149], v[240:243]// 000000007378: D3E100F0 07C32978
	ds_write_b32 v15, v86 offset:4480                          // 000000007380: D81A1180 0000560F
	ds_write_b32 v15, v87 offset:5536                          // 000000007388: D81A15A0 0000570F
	v_mfma_f32_16x16x16_bf16 v[244:247], v[122:123], v[148:149], v[244:247]// 000000007390: D3E100F4 07D3297A
	s_nop 0                                                    // 000000007398: BF800000
	s_nop 0                                                    // 00000000739C: BF800000
	s_nop 0                                                    // 0000000073A0: BF800000
	s_barrier                                                  // 0000000073A4: BF8A0000
	v_mfma_f32_16x16x16_bf16 a[160:163], a[144:145], v[72:73], a[160:163]// 0000000073A8: D3E180A0 0E829190
	ds_read_b32 v124, v23 offset:51200                         // 0000000073B0: D86CC800 7C000017
	ds_read_b32 v150, v23 offset:51456                         // 0000000073B8: D86CC900 96000017
	v_mfma_f32_16x16x16_bf16 a[164:167], a[146:147], v[72:73], a[164:167]// 0000000073C0: D3E180A4 0E929192
	global_atomic_pk_add_bf16 v6, v136, s[32:33]               // 0000000073C8: DD488000 00208806
	v_mfma_f32_16x16x16_bf16 a[168:171], a[148:149], v[72:73], a[168:171]// 0000000073D0: D3E180A8 0EA29194
	s_waitcnt lgkmcnt(6)                                       // 0000000073D8: BF8CC67F
	s_barrier                                                  // 0000000073DC: BF8A0000
	v_mfma_f32_16x16x16_bf16 a[172:175], a[150:151], v[72:73], a[172:175]// 0000000073E0: D3E180AC 0EB29196
	v_mfma_f32_16x16x16_bf16 a[176:179], a[152:153], v[72:73], a[176:179]// 0000000073E8: D3E180B0 0EC29198
	ds_read_b128 v[48:51], v19 offset:17408                    // 0000000073F0: D9FE4400 30000013
	v_mfma_f32_16x16x16_bf16 a[180:183], a[154:155], v[72:73], a[180:183]// 0000000073F8: D3E180B4 0ED2919A
	v_mfma_f32_16x16x16_bf16 a[184:187], a[156:157], v[72:73], a[184:187]// 000000007400: D3E180B8 0EE2919C
	ds_read_b128 v[52:55], v19 offset:18560                    // 000000007408: D9FE4880 34000013
	v_mfma_f32_16x16x16_bf16 a[188:191], a[158:159], v[72:73], a[188:191]// 000000007410: D3E180BC 0EF2919E
	global_atomic_pk_add_bf16 v8, v137, s[32:33]               // 000000007418: DD488000 00208908
	v_mfma_f32_16x16x16_bf16 a[192:195], a[144:145], v[74:75], a[192:195]// 000000007420: D3E180C0 0F029590
	ds_read_b128 v[56:59], v19 offset:19712                    // 000000007428: D9FE4D00 38000013
	v_mfma_f32_16x16x16_bf16 a[196:199], a[146:147], v[74:75], a[196:199]// 000000007430: D3E180C4 0F129592
	v_mfma_f32_16x16x16_bf16 a[200:203], a[148:149], v[74:75], a[200:203]// 000000007438: D3E180C8 0F229594
	ds_read_b128 v[60:63], v19 offset:20864                    // 000000007440: D9FE5180 3C000013
	v_mfma_f32_16x16x16_bf16 a[204:207], a[150:151], v[74:75], a[204:207]// 000000007448: D3E180CC 0F329596
	v_mfma_f32_16x16x16_bf16 a[208:211], a[152:153], v[74:75], a[208:211]// 000000007450: D3E180D0 0F429598
	ds_read_b128 v[64:67], v19 offset:22016                    // 000000007458: D9FE5600 40000013
	v_mfma_f32_16x16x16_bf16 a[212:215], a[154:155], v[74:75], a[212:215]// 000000007460: D3E180D4 0F52959A
	global_atomic_pk_add_bf16 v6, v138, s[32:33] offset:128    // 000000007468: DD488080 00208A06
	v_mfma_f32_16x16x16_bf16 a[216:219], a[156:157], v[74:75], a[216:219]// 000000007470: D3E180D8 0F62959C
	ds_read_b128 v[68:71], v19 offset:23168                    // 000000007478: D9FE5A80 44000013
	v_mfma_f32_16x16x16_bf16 a[220:223], a[158:159], v[74:75], a[220:223]// 000000007480: D3E180DC 0F72959E
	v_mfma_f32_16x16x16_bf16 a[224:227], a[144:145], v[76:77], a[224:227]// 000000007488: D3E180E0 0F829990
	ds_write_b32 v15, v88 offset:13056                         // 000000007490: D81A3300 0000580F
	v_mfma_f32_16x16x16_bf16 a[228:231], a[146:147], v[76:77], a[228:231]// 000000007498: D3E180E4 0F929992
	v_mfma_f32_16x16x16_bf16 a[232:235], a[148:149], v[76:77], a[232:235]// 0000000074A0: D3E180E8 0FA29994
	ds_write_b32 v15, v89 offset:14112                         // 0000000074A8: D81A3720 0000590F
	v_mfma_f32_16x16x16_bf16 a[236:239], a[150:151], v[76:77], a[236:239]// 0000000074B0: D3E180EC 0FB29996
	global_atomic_pk_add_bf16 v8, v139, s[32:33] offset:128    // 0000000074B8: DD488080 00208B08
	v_mfma_f32_16x16x16_bf16 a[240:243], a[152:153], v[76:77], a[240:243]// 0000000074C0: D3E180F0 0FC29998
	ds_write_b32 v15, v90 offset:13184                         // 0000000074C8: D81A3380 00005A0F
	v_mfma_f32_16x16x16_bf16 a[244:247], a[154:155], v[76:77], a[244:247]// 0000000074D0: D3E180F4 0FD2999A
	v_mfma_f32_16x16x16_bf16 a[248:251], a[156:157], v[76:77], a[248:251]// 0000000074D8: D3E180F8 0FE2999C
	ds_write_b32 v15, v91 offset:14240                         // 0000000074E0: D81A37A0 00005B0F
	v_mfma_f32_16x16x16_bf16 a[252:255], a[158:159], v[76:77], a[252:255]// 0000000074E8: D3E180FC 0FF2999E
	s_waitcnt vmcnt(4) lgkmcnt(4)                              // 0000000074F0: BF8C0474
	s_barrier                                                  // 0000000074F4: BF8A0000
	v_mfma_f32_16x16x16_bf16 v[128:131], a[48:49], v[48:49], 0 // 0000000074F8: D3E10080 0A026130
	ds_read_b128 a[144:147], v12                               // 000000007500: DBFE0000 9000000C
	buffer_load_dword v36, v1, s[8:11], 0 idxen                // 000000007508: E0502000 80022401
	v_mfma_f32_16x16x16_bf16 v[128:131], a[52:53], v[50:51], v[128:131]// 000000007510: D3E10080 0E026534
	v_mul_f32_e32 v124, s49, v124                              // 000000007518: 0AF8F831
	s_nop 0                                                    // 00000000751C: BF800000
	v_mfma_f32_16x16x16_bf16 v[128:131], a[56:57], v[52:53], v[128:131]// 000000007520: D3E10080 0E026938
	ds_read_b128 a[148:151], v12 offset:512                    // 000000007528: DBFE0200 9400000C
	buffer_load_dword v37, v2, s[8:11], 0 idxen                // 000000007530: E0502000 80022502
	v_mfma_f32_16x16x16_bf16 v[128:131], a[60:61], v[54:55], v[128:131]// 000000007538: D3E10080 0E026D3C
	v_mfma_f32_16x16x16_bf16 v[128:131], a[64:65], v[56:57], v[128:131]// 000000007540: D3E10080 0E027140
	ds_read_b128 a[152:155], v12 offset:2176                   // 000000007548: DBFE0880 9800000C
	buffer_load_dword v38, v3, s[8:11], 0 idxen                // 000000007550: E0502000 80022603
	v_mfma_f32_16x16x16_bf16 v[128:131], a[68:69], v[58:59], v[128:131]// 000000007558: D3E10080 0E027544
	v_perm_b32 v84, v33, v32, s63                              // 000000007560: D1ED0054 00FE4121
	v_perm_b32 v85, v33, v32, s64                              // 000000007568: D1ED0055 01024121
	v_mfma_f32_16x16x16_bf16 v[128:131], a[72:73], v[60:61], v[128:131]// 000000007570: D3E10080 0E027948
	ds_read_b128 a[156:159], v12 offset:2688                   // 000000007578: DBFE0A80 9C00000C
	buffer_load_dword v39, v4, s[8:11], 0 idxen                // 000000007580: E0502000 80022704
	v_mfma_f32_16x16x16_bf16 v[128:131], a[76:77], v[62:63], v[128:131]// 000000007588: D3E10080 0E027D4C
	v_perm_b32 v86, v35, v34, s63                              // 000000007590: D1ED0056 00FE4523
	v_perm_b32 v87, v35, v34, s64                              // 000000007598: D1ED0057 01024523
	v_mfma_f32_16x16x16_bf16 v[128:131], a[80:81], v[64:65], v[128:131]// 0000000075A0: D3E10080 0E028150
	ds_read_b128 v[92:95], v12 offset:8704                     // 0000000075A8: D9FE2200 5C00000C
	buffer_load_dword v44, v1, s[20:23], 0 idxen               // 0000000075B0: E0502000 80052C01
	v_mfma_f32_16x16x16_bf16 v[128:131], a[84:85], v[66:67], v[128:131]// 0000000075B8: D3E10080 0E028554
	v_perm_b32 v88, v41, v40, s63                              // 0000000075C0: D1ED0058 00FE5129
	v_perm_b32 v89, v41, v40, s64                              // 0000000075C8: D1ED0059 01025129
	v_mfma_f32_16x16x16_bf16 v[128:131], a[88:89], v[68:69], v[128:131]// 0000000075D0: D3E10080 0E028958
	ds_read_b128 v[96:99], v12 offset:9216                     // 0000000075D8: D9FE2400 6000000C
	buffer_load_dword v45, v2, s[20:23], 0 idxen               // 0000000075E0: E0502000 80052D02
	v_mfma_f32_16x16x16_bf16 v[128:131], a[92:93], v[70:71], v[128:131]// 0000000075E8: D3E10080 0E028D5C
	v_perm_b32 v90, v43, v42, s63                              // 0000000075F0: D1ED005A 00FE552B
	v_perm_b32 v91, v43, v42, s64                              // 0000000075F8: D1ED005B 0102552B
	v_mfma_f32_16x16x16_bf16 v[132:135], a[50:51], v[48:49], 0 // 000000007600: D3E10084 0A026132
	ds_read_b128 v[100:103], v12 offset:10880                  // 000000007608: D9FE2A80 6400000C
	buffer_load_dword v46, v3, s[20:23], 0 idxen               // 000000007610: E0502000 80052E03
	v_mfma_f32_16x16x16_bf16 v[132:135], a[54:55], v[50:51], v[132:135]// 000000007618: D3E10084 0E126536
	v_mov_b32_dpp v127, v124 quad_perm:[3,3,3,3] row_mask:0xf bank_mask:0xf// 000000007620: 7EFE02FA FF00FF7C
	v_mov_b32_dpp v126, v124 quad_perm:[2,2,2,2] row_mask:0xf bank_mask:0xf// 000000007628: 7EFC02FA FF00AA7C
	v_mfma_f32_16x16x16_bf16 v[132:135], a[58:59], v[52:53], v[132:135]// 000000007630: D3E10084 0E12693A
	ds_read_b128 v[104:107], v12 offset:11392                  // 000000007638: D9FE2C80 6800000C
	buffer_load_dword v47, v4, s[20:23], 0 idxen               // 000000007640: E0502000 80052F04
	v_mfma_f32_16x16x16_bf16 v[132:135], a[62:63], v[54:55], v[132:135]// 000000007648: D3E10084 0E126D3E
	v_mov_b32_dpp v125, v124 quad_perm:[1,1,1,1] row_mask:0xf bank_mask:0xf// 000000007650: 7EFA02FA FF00557C
	v_mov_b32_dpp v124, v124 quad_perm:[0,0,0,0] row_mask:0xf bank_mask:0xf// 000000007658: 7EF802FA FF00007C
	s_add_u32 s60, 64, s59                                     // 000000007660: 803C3BC0
	v_mfma_f32_16x16x16_bf16 v[132:135], a[66:67], v[56:57], v[132:135]// 000000007664: D3E10084 0E127142
	buffer_load_dword v11, s[24:27], 0 idxen lds               // 00000000766C: E0512000 8006000B
	v_mfma_f32_16x16x16_bf16 v[132:135], a[70:71], v[58:59], v[132:135]// 000000007674: D3E10084 0E127546
	s_cmp_lt_u32 s60, s58                                      // 00000000767C: BF0A3A3C
	s_cselect_b32 s68, s68, 0                                  // 000000007680: 85448044
	s_cselect_b32 s69, s69, 0                                  // 000000007684: 85458045
	v_mfma_f32_16x16x16_bf16 v[132:135], a[74:75], v[60:61], v[132:135]// 000000007688: D3E10084 0E12794A
	s_add_u32 s8, s68, s8                                      // 000000007690: 80080844
	s_addc_u32 s9, 0, s9                                       // 000000007694: 82090980
	v_mfma_f32_16x16x16_bf16 v[132:135], a[78:79], v[62:63], v[132:135]// 000000007698: D3E10084 0E127D4E
	s_add_u32 s20, s68, s20                                    // 0000000076A0: 80141444
	s_addc_u32 s21, 0, s21                                     // 0000000076A4: 82151580
	v_mfma_f32_16x16x16_bf16 v[132:135], a[82:83], v[64:65], v[132:135]// 0000000076A8: D3E10084 0E128152
	s_mov_b32 m0, s76                                          // 0000000076B0: BEFC004C
	v_add_u32_e32 v11, s69, v11                                // 0000000076B4: 68161645
	v_mfma_f32_16x16x16_bf16 v[132:135], a[86:87], v[66:67], v[132:135]// 0000000076B8: D3E10084 0E128556
	s_cmp_ge_u32 s59, 16                                       // 0000000076C0: BF09903B
	s_cselect_b32 s66, s67, s66                                // 0000000076C4: 85424243
	v_mfma_f32_16x16x16_bf16 v[132:135], a[90:91], v[68:69], v[132:135]// 0000000076C8: D3E10084 0E12895A
	s_addk_i32 s59, 0x10                                       // 0000000076D0: B73B0010
	s_nop 0                                                    // 0000000076D4: BF800000
	s_cmp_lt_i32 s59, s58                                      // 0000000076D8: BF043A3B
	v_mfma_f32_16x16x16_bf16 v[132:135], a[94:95], v[70:71], v[132:135]// 0000000076DC: D3E10084 0E128D5E
	s_cbranch_scc0 label_0BF2                                  // 0000000076E4: BF84FDB8
	s_waitcnt lgkmcnt(4)                                       // 0000000076E8: BF8CC47F
	s_barrier                                                  // 0000000076EC: BF8A0000
	v_mfma_f32_16x16x16_bf16 v[48:51], a[144:145], a[0:1], 0   // 0000000076F0: D3E10030 1A020190
	v_mul_f32_e32 v128, s48, v128                              // 0000000076F8: 0B010030
	v_mul_f32_e32 v129, s48, v129                              // 0000000076FC: 0B030230
	v_mfma_f32_16x16x16_bf16 v[48:51], a[146:147], a[2:3], v[48:51]// 000000007700: D3E10030 1CC20592
	ds_write_b32 v13, v40 offset:8704                          // 000000007708: D81A2200 0000280D
	ds_write_b32 v13, v41 offset:9760                          // 000000007710: D81A2620 0000290D
	v_mfma_f32_16x16x16_bf16 v[48:51], a[148:149], a[4:5], v[48:51]// 000000007718: D3E10030 1CC20994
	v_mul_f32_e32 v130, s48, v130                              // 000000007720: 0B050430
	v_mul_f32_e32 v131, s48, v131                              // 000000007724: 0B070630
	v_mfma_f32_16x16x16_bf16 v[48:51], a[150:151], a[6:7], v[48:51]// 000000007728: D3E10030 1CC20D96
	ds_write_b32 v13, v42 offset:8832                          // 000000007730: D81A2280 00002A0D
	ds_write_b32 v13, v43 offset:9888                          // 000000007738: D81A26A0 00002B0D
	v_mfma_f32_16x16x16_bf16 v[48:51], a[152:153], a[8:9], v[48:51]// 000000007740: D3E10030 1CC21198
	v_mul_f32_e32 v132, s48, v132                              // 000000007748: 0B090830
	v_mul_f32_e32 v133, s48, v133                              // 00000000774C: 0B0B0A30
	v_mfma_f32_16x16x16_bf16 v[48:51], a[154:155], a[10:11], v[48:51]// 000000007750: D3E10030 1CC2159A
	v_mul_f32_e32 v134, s48, v134                              // 000000007758: 0B0D0C30
	v_mul_f32_e32 v135, s48, v135                              // 00000000775C: 0B0F0E30
	v_mfma_f32_16x16x16_bf16 v[48:51], a[156:157], a[12:13], v[48:51]// 000000007760: D3E10030 1CC2199C
	v_perm_b32 v128, v129, v128, s64                           // 000000007768: D1ED0080 01030181
	v_perm_b32 v129, v131, v130, s64                           // 000000007770: D1ED0081 01030583
	v_mfma_f32_16x16x16_bf16 v[48:51], a[158:159], a[14:15], v[48:51]// 000000007778: D3E10030 1CC21D9E
	v_perm_b32 v130, v133, v132, s64                           // 000000007780: D1ED0082 01030985
	v_perm_b32 v131, v135, v134, s64                           // 000000007788: D1ED0083 01030D87
	v_mfma_f32_16x16x16_bf16 v[52:55], a[144:145], a[16:17], 0 // 000000007790: D3E10034 1A022190
	v_mfma_f32_16x16x16_bf16 v[52:55], a[146:147], a[18:19], v[52:55]// 000000007798: D3E10034 1CD22592
	ds_write_b64 v22, v[128:129] offset:24320                  // 0000000077A0: D89A5F00 00008016
	v_mfma_f32_16x16x16_bf16 v[52:55], a[148:149], a[20:21], v[52:55]// 0000000077A8: D3E10034 1CD22994
	v_mfma_f32_16x16x16_bf16 v[52:55], a[150:151], a[22:23], v[52:55]// 0000000077B0: D3E10034 1CD22D96
	ds_write_b64 v22, v[130:131] offset:24864                  // 0000000077B8: D89A6120 00008216
	v_mfma_f32_16x16x16_bf16 v[52:55], a[152:153], a[24:25], v[52:55]// 0000000077C0: D3E10034 1CD23198
	v_mfma_f32_16x16x16_bf16 v[52:55], a[154:155], a[26:27], v[52:55]// 0000000077C8: D3E10034 1CD2359A
	ds_read_b128 v[108:111], v14 offset:13056                  // 0000000077D0: D9FE3300 6C00000E
	ds_write_b32 v13, v32                                      // 0000000077D8: D81A0000 0000200D
	v_mfma_f32_16x16x16_bf16 v[52:55], a[156:157], a[28:29], v[52:55]// 0000000077E0: D3E10034 1CD2399C
	v_mfma_f32_16x16x16_bf16 v[52:55], a[158:159], a[30:31], v[52:55]// 0000000077E8: D3E10034 1CD23D9E
	v_mfma_f32_16x16x16_bf16 v[56:59], a[144:145], a[32:33], 0 // 0000000077F0: D3E10038 1A024190
	ds_read_b128 v[112:115], v14 offset:13568                  // 0000000077F8: D9FE3500 7000000E
	ds_write_b32 v13, v33 offset:1056                          // 000000007800: D81A0420 0000210D
	v_mfma_f32_16x16x16_bf16 v[56:59], a[146:147], a[34:35], v[56:59]// 000000007808: D3E10038 1CE24592
	v_mfma_f32_16x16x16_bf16 v[56:59], a[148:149], a[36:37], v[56:59]// 000000007810: D3E10038 1CE24994
	v_mfma_f32_16x16x16_bf16 v[56:59], a[150:151], a[38:39], v[56:59]// 000000007818: D3E10038 1CE24D96
	ds_read_b128 v[116:119], v14 offset:15232                  // 000000007820: D9FE3B80 7400000E
	ds_write_b32 v13, v34 offset:128                           // 000000007828: D81A0080 0000220D
	v_mfma_f32_16x16x16_bf16 v[56:59], a[152:153], a[40:41], v[56:59]// 000000007830: D3E10038 1CE25198
	v_mfma_f32_16x16x16_bf16 v[56:59], a[154:155], a[42:43], v[56:59]// 000000007838: D3E10038 1CE2559A
	v_mfma_f32_16x16x16_bf16 v[56:59], a[156:157], a[44:45], v[56:59]// 000000007840: D3E10038 1CE2599C
	ds_read_b128 v[120:123], v14 offset:15744                  // 000000007848: D9FE3D80 7800000E
	ds_write_b32 v13, v35 offset:1184                          // 000000007850: D81A04A0 0000230D
	v_mfma_f32_16x16x16_bf16 v[56:59], a[158:159], a[46:47], v[56:59]// 000000007858: D3E10038 1CE25D9E
	s_cmp_lt_i32 s73, 3                                        // 000000007860: BF048349
	s_cbranch_scc0 label_0EA9                                  // 000000007864: BF84000F
	s_cmp_eq_i32 s73, 1                                        // 000000007868: BF008149
	s_cbranch_scc1 label_0E9F                                  // 00000000786C: BF850003
	s_cmp_eq_i32 s73, 2                                        // 000000007870: BF008249
	s_cbranch_scc1 label_0EA4                                  // 000000007874: BF850006
	s_branch label_0EA9                                        // 000000007878: BF82000A

000000000000787c <label_0E9F>:
	v_mov_b32_e32 v52, v151                                    // 00000000787C: 7E680397
	v_mov_b32_e32 v53, v151                                    // 000000007880: 7E6A0397
	v_mov_b32_e32 v54, v151                                    // 000000007884: 7E6C0397
	v_mov_b32_e32 v55, v151                                    // 000000007888: 7E6E0397
	s_branch label_0EA4                                        // 00000000788C: BF820000

0000000000007890 <label_0EA4>:
	v_mov_b32_e32 v56, v151                                    // 000000007890: 7E700397
	v_mov_b32_e32 v57, v151                                    // 000000007894: 7E720397
	v_mov_b32_e32 v58, v151                                    // 000000007898: 7E740397
	v_mov_b32_e32 v59, v151                                    // 00000000789C: 7E760397
	s_branch label_0EA9                                        // 0000000078A0: BF820000

00000000000078a4 <label_0EA9>:
	s_waitcnt lgkmcnt(8)                                       // 0000000078A4: BF8CC87F
	s_barrier                                                  // 0000000078A8: BF8A0000
	v_mfma_f32_16x16x16_bf16 v[72:75], v[92:93], a[96:97], 0   // 0000000078AC: D3E10048 1202C15C
	v_fma_f32 v48, v48, s57, -v124                             // 0000000078B4: D1CB0030 85F07330
	v_fma_f32 v49, v49, s57, -v125                             // 0000000078BC: D1CB0031 85F47331
	v_fma_f32 v50, v50, s57, -v126                             // 0000000078C4: D1CB0032 85F87332
	v_mfma_f32_16x16x16_bf16 v[72:75], v[94:95], a[98:99], v[72:75]// 0000000078CC: D3E10048 1522C55E
	ds_read_b128 a[144:147], v14 offset:4352                   // 0000000078D4: DBFE1100 9000000E
	ds_read_b128 a[148:151], v14 offset:4864                   // 0000000078DC: DBFE1300 9400000E
	v_mfma_f32_16x16x16_bf16 v[72:75], v[96:97], a[100:101], v[72:75]// 0000000078E4: D3E10048 1522C960
	v_fma_f32 v51, v51, s57, -v127                             // 0000000078EC: D1CB0033 85FC7333
	v_fma_f32 v52, v52, s57, -v124                             // 0000000078F4: D1CB0034 85F07334
	v_fma_f32 v53, v53, s57, -v125                             // 0000000078FC: D1CB0035 85F47335
	v_mfma_f32_16x16x16_bf16 v[72:75], v[98:99], a[102:103], v[72:75]// 000000007904: D3E10048 1522CD62
	v_fma_f32 v54, v54, s57, -v126                             // 00000000790C: D1CB0036 85F87336
	v_fma_f32 v55, v55, s57, -v127                             // 000000007914: D1CB0037 85FC7337
	v_fma_f32 v56, v56, s57, -v124                             // 00000000791C: D1CB0038 85F07338
	v_mfma_f32_16x16x16_bf16 v[72:75], v[100:101], a[104:105], v[72:75]// 000000007924: D3E10048 1522D164
	v_fma_f32 v57, v57, s57, -v125                             // 00000000792C: D1CB0039 85F47339
	v_fma_f32 v58, v58, s57, -v126                             // 000000007934: D1CB003A 85F8733A
	v_fma_f32 v59, v59, s57, -v127                             // 00000000793C: D1CB003B 85FC733B
	v_mfma_f32_16x16x16_bf16 v[72:75], v[102:103], a[106:107], v[72:75]// 000000007944: D3E10048 1522D566
	ds_read_b128 a[152:155], v14 offset:6528                   // 00000000794C: DBFE1980 9800000E
	ds_read_b128 a[156:159], v14 offset:7040                   // 000000007954: DBFE1B80 9C00000E
	v_mfma_f32_16x16x16_bf16 v[72:75], v[104:105], a[108:109], v[72:75]// 00000000795C: D3E10048 1522D968
	v_exp_f32_e32 v48, v48                                     // 000000007964: 7E604130
	v_mfma_f32_16x16x16_bf16 v[72:75], v[106:107], a[110:111], v[72:75]// 000000007968: D3E10048 1522DD6A
	v_exp_f32_e32 v49, v49                                     // 000000007970: 7E624131
	v_mfma_f32_16x16x16_bf16 v[76:79], v[92:93], a[112:113], 0 // 000000007974: D3E1004C 1202E15C
	v_exp_f32_e32 v50, v50                                     // 00000000797C: 7E644132
	v_mfma_f32_16x16x16_bf16 v[76:79], v[94:95], a[114:115], v[76:79]// 000000007980: D3E1004C 1532E55E
	ds_read_b32 v136, v21 offset:24320                         // 000000007988: D86C5F00 88000015
	ds_read_b32 v137, v21 offset:24336                         // 000000007990: D86C5F10 89000015
	v_mfma_f32_16x16x16_bf16 v[76:79], v[96:97], a[116:117], v[76:79]// 000000007998: D3E1004C 1532E960
	v_exp_f32_e32 v51, v51                                     // 0000000079A0: 7E664133
	v_mfma_f32_16x16x16_bf16 v[76:79], v[98:99], a[118:119], v[76:79]// 0000000079A4: D3E1004C 1532ED62
	ds_read_b32 v138, v21 offset:26496                         // 0000000079AC: D86C6780 8A000015
	ds_read_b32 v139, v21 offset:26512                         // 0000000079B4: D86C6790 8B000015
	v_mfma_f32_16x16x16_bf16 v[76:79], v[100:101], a[120:121], v[76:79]// 0000000079BC: D3E1004C 1532F164
	v_exp_f32_e32 v52, v52                                     // 0000000079C4: 7E684134
	v_mfma_f32_16x16x16_bf16 v[76:79], v[102:103], a[122:123], v[76:79]// 0000000079C8: D3E1004C 1532F566
	v_exp_f32_e32 v53, v53                                     // 0000000079D0: 7E6A4135
	v_mfma_f32_16x16x16_bf16 v[76:79], v[104:105], a[124:125], v[76:79]// 0000000079D4: D3E1004C 1532F968
	v_exp_f32_e32 v54, v54                                     // 0000000079DC: 7E6C4136
	v_mfma_f32_16x16x16_bf16 v[76:79], v[106:107], a[126:127], v[76:79]// 0000000079E0: D3E1004C 1532FD6A
	v_exp_f32_e32 v55, v55                                     // 0000000079E8: 7E6E4137
	v_mfma_f32_16x16x16_bf16 v[80:83], v[92:93], a[128:129], 0 // 0000000079EC: D3E10050 1203015C
	v_exp_f32_e32 v56, v56                                     // 0000000079F4: 7E704138
	v_mfma_f32_16x16x16_bf16 v[80:83], v[94:95], a[130:131], v[80:83]// 0000000079F8: D3E10050 1543055E
	v_exp_f32_e32 v57, v57                                     // 000000007A00: 7E724139
	v_mfma_f32_16x16x16_bf16 v[80:83], v[96:97], a[132:133], v[80:83]// 000000007A04: D3E10050 15430960
	v_exp_f32_e32 v58, v58                                     // 000000007A0C: 7E74413A
	v_mfma_f32_16x16x16_bf16 v[80:83], v[98:99], a[134:135], v[80:83]// 000000007A10: D3E10050 15430D62
	v_exp_f32_e32 v59, v59                                     // 000000007A18: 7E76413B
	v_mfma_f32_16x16x16_bf16 v[80:83], v[100:101], a[136:137], v[80:83]// 000000007A1C: D3E10050 15431164
	v_perm_b32 v144, v49, v48, s64                             // 000000007A24: D1ED0090 01026131
	v_perm_b32 v145, v51, v50, s64                             // 000000007A2C: D1ED0091 01026533
	v_perm_b32 v146, v53, v52, s64                             // 000000007A34: D1ED0092 01026935
	v_mfma_f32_16x16x16_bf16 v[80:83], v[102:103], a[138:139], v[80:83]// 000000007A3C: D3E10050 15431566
	v_perm_b32 v147, v55, v54, s64                             // 000000007A44: D1ED0093 01026D37
	v_perm_b32 v148, v57, v56, s64                             // 000000007A4C: D1ED0094 01027139
	v_perm_b32 v149, v59, v58, s64                             // 000000007A54: D1ED0095 0102753B
	v_mfma_f32_16x16x16_bf16 v[80:83], v[104:105], a[140:141], v[80:83]// 000000007A5C: D3E10050 15431968
	s_add_u32 s32, s66, s32                                    // 000000007A64: 80202042
	s_addc_u32 s33, 0, s33                                     // 000000007A68: 82212180
	v_mfma_f32_16x16x16_bf16 v[80:83], v[106:107], a[142:143], v[80:83]// 000000007A6C: D3E10050 15431D6A
	s_waitcnt lgkmcnt(0)                                       // 000000007A74: BF8CC07F
	s_barrier                                                  // 000000007A78: BF8A0000
	v_mfma_f32_16x16x16_bf16 v[152:155], v[108:109], v[144:145], v[152:155]// 000000007A7C: D3E10098 0663216C
	v_subrev_f32_dpp v72, v150, v72 quad_perm:[0,0,0,0] row_mask:0xf bank_mask:0xf// 000000007A84: 069090FA FF000096
	v_subrev_f32_dpp v73, v150, v73 quad_perm:[1,1,1,1] row_mask:0xf bank_mask:0xf// 000000007A8C: 069292FA FF005596
	v_subrev_f32_dpp v74, v150, v74 quad_perm:[2,2,2,2] row_mask:0xf bank_mask:0xf// 000000007A94: 069494FA FF00AA96
	v_mfma_f32_16x16x16_bf16 v[156:159], v[110:111], v[144:145], v[156:159]// 000000007A9C: D3E1009C 0673216E
	v_subrev_f32_dpp v75, v150, v75 quad_perm:[3,3,3,3] row_mask:0xf bank_mask:0xf// 000000007AA4: 069696FA FF00FF96
	v_subrev_f32_dpp v76, v150, v76 quad_perm:[0,0,0,0] row_mask:0xf bank_mask:0xf// 000000007AAC: 069898FA FF000096
	v_subrev_f32_dpp v77, v150, v77 quad_perm:[1,1,1,1] row_mask:0xf bank_mask:0xf// 000000007AB4: 069A9AFA FF005596
	v_mfma_f32_16x16x16_bf16 v[160:163], v[112:113], v[144:145], v[160:163]// 000000007ABC: D3E100A0 06832170
	v_mul_f32_e32 v72, v48, v72                                // 000000007AC4: 0A909130
	v_mul_f32_e32 v73, v49, v73                                // 000000007AC8: 0A929331
	v_mul_f32_e32 v74, v50, v74                                // 000000007ACC: 0A949532
	v_mfma_f32_16x16x16_bf16 v[164:167], v[114:115], v[144:145], v[164:167]// 000000007AD0: D3E100A4 06932172
	v_mul_f32_e32 v75, v51, v75                                // 000000007AD8: 0A969733
	v_mul_f32_e32 v76, v52, v76                                // 000000007ADC: 0A989934
	v_mul_f32_e32 v77, v53, v77                                // 000000007AE0: 0A9A9B35
	v_mfma_f32_16x16x16_bf16 v[168:171], v[116:117], v[144:145], v[168:171]// 000000007AE4: D3E100A8 06A32174
	v_perm_b32 v72, v73, v72, s64                              // 000000007AEC: D1ED0048 01029149
	v_perm_b32 v73, v75, v74, s64                              // 000000007AF4: D1ED0049 0102954B
	v_perm_b32 v74, v77, v76, s64                              // 000000007AFC: D1ED004A 0102994D
	v_mfma_f32_16x16x16_bf16 v[172:175], v[118:119], v[144:145], v[172:175]// 000000007B04: D3E100AC 06B32176
	v_mov_b32_dpp v18, v72 quad_perm:[1,0,3,2] row_mask:0xf bank_mask:0xf// 000000007B0C: 7E2402FA FF00B148
	v_perm_b32 v48, v18, v72, v17                              // 000000007B14: D1ED0030 04469112
	v_mov_b32_dpp v18, v73 quad_perm:[1,0,3,2] row_mask:0xf bank_mask:0xf// 000000007B1C: 7E2402FA FF00B149
	v_mfma_f32_16x16x16_bf16 v[176:179], v[120:121], v[144:145], v[176:179]// 000000007B24: D3E100B0 06C32178
	ds_write_b32 v20, v48 offset:17408                         // 000000007B2C: D81A4400 00003014
	v_mfma_f32_16x16x16_bf16 v[180:183], v[122:123], v[144:145], v[180:183]// 000000007B34: D3E100B4 06D3217A
	v_perm_b32 v49, v18, v73, v17                              // 000000007B3C: D1ED0031 04469312
	v_mov_b32_dpp v18, v74 quad_perm:[1,0,3,2] row_mask:0xf bank_mask:0xf// 000000007B44: 7E2402FA FF00B14A
	v_perm_b32 v50, v18, v74, v17                              // 000000007B4C: D1ED0032 04469512
	v_mfma_f32_16x16x16_bf16 v[184:187], v[108:109], v[146:147], v[184:187]// 000000007B54: D3E100B8 06E3256C
	ds_write_b32 v20, v49 offset:17952                         // 000000007B5C: D81A4620 00003114
	v_mfma_f32_16x16x16_bf16 v[188:191], v[110:111], v[146:147], v[188:191]// 000000007B64: D3E100BC 06F3256E
	v_subrev_f32_dpp v78, v150, v78 quad_perm:[2,2,2,2] row_mask:0xf bank_mask:0xf// 000000007B6C: 069C9CFA FF00AA96
	v_subrev_f32_dpp v79, v150, v79 quad_perm:[3,3,3,3] row_mask:0xf bank_mask:0xf// 000000007B74: 069E9EFA FF00FF96
	v_subrev_f32_dpp v80, v150, v80 quad_perm:[0,0,0,0] row_mask:0xf bank_mask:0xf// 000000007B7C: 06A0A0FA FF000096
	v_mfma_f32_16x16x16_bf16 v[192:195], v[112:113], v[146:147], v[192:195]// 000000007B84: D3E100C0 07032570
	ds_write_b32 v20, v50 offset:19712                         // 000000007B8C: D81A4D00 00003214
	v_mfma_f32_16x16x16_bf16 v[196:199], v[114:115], v[146:147], v[196:199]// 000000007B94: D3E100C4 07132572
	v_subrev_f32_dpp v81, v150, v81 quad_perm:[1,1,1,1] row_mask:0xf bank_mask:0xf// 000000007B9C: 06A2A2FA FF005596
	v_subrev_f32_dpp v82, v150, v82 quad_perm:[2,2,2,2] row_mask:0xf bank_mask:0xf// 000000007BA4: 06A4A4FA FF00AA96
	v_subrev_f32_dpp v83, v150, v83 quad_perm:[3,3,3,3] row_mask:0xf bank_mask:0xf// 000000007BAC: 06A6A6FA FF00FF96
	v_mfma_f32_16x16x16_bf16 v[200:203], v[116:117], v[146:147], v[200:203]// 000000007BB4: D3E100C8 07232574
	v_mul_f32_e32 v78, v54, v78                                // 000000007BBC: 0A9C9D36
	v_mul_f32_e32 v79, v55, v79                                // 000000007BC0: 0A9E9F37
	v_mul_f32_e32 v80, v56, v80                                // 000000007BC4: 0AA0A138
	v_mfma_f32_16x16x16_bf16 v[204:207], v[118:119], v[146:147], v[204:207]// 000000007BC8: D3E100CC 07332576
	v_mul_f32_e32 v81, v57, v81                                // 000000007BD0: 0AA2A339
	v_mul_f32_e32 v82, v58, v82                                // 000000007BD4: 0AA4A53A
	v_mul_f32_e32 v83, v59, v83                                // 000000007BD8: 0AA6A73B
	v_mfma_f32_16x16x16_bf16 v[208:211], v[120:121], v[146:147], v[208:211]// 000000007BDC: D3E100D0 07432578
	v_perm_b32 v75, v79, v78, s64                              // 000000007BE4: D1ED004B 01029D4F
	v_perm_b32 v76, v81, v80, s64                              // 000000007BEC: D1ED004C 0102A151
	v_perm_b32 v77, v83, v82, s64                              // 000000007BF4: D1ED004D 0102A553
	v_mfma_f32_16x16x16_bf16 v[212:215], v[122:123], v[146:147], v[212:215]// 000000007BFC: D3E100D4 0753257A
	v_mov_b32_dpp v18, v75 quad_perm:[1,0,3,2] row_mask:0xf bank_mask:0xf// 000000007C04: 7E2402FA FF00B14B
	v_perm_b32 v51, v18, v75, v17                              // 000000007C0C: D1ED0033 04469712
	v_mov_b32_dpp v18, v76 quad_perm:[1,0,3,2] row_mask:0xf bank_mask:0xf// 000000007C14: 7E2402FA FF00B14C
	v_mfma_f32_16x16x16_bf16 v[216:219], v[108:109], v[148:149], v[216:219]// 000000007C1C: D3E100D8 0763296C
	ds_write_b32 v20, v51 offset:20256                         // 000000007C24: D81A4F20 00003314
	v_mfma_f32_16x16x16_bf16 v[220:223], v[110:111], v[148:149], v[220:223]// 000000007C2C: D3E100DC 0773296E
	v_perm_b32 v52, v18, v76, v17                              // 000000007C34: D1ED0034 04469912
	v_mov_b32_dpp v18, v77 quad_perm:[1,0,3,2] row_mask:0xf bank_mask:0xf// 000000007C3C: 7E2402FA FF00B14D
	v_perm_b32 v53, v18, v77, v17                              // 000000007C44: D1ED0035 04469B12
	v_mfma_f32_16x16x16_bf16 v[224:227], v[112:113], v[148:149], v[224:227]// 000000007C4C: D3E100E0 07832970
	ds_write_b32 v20, v52 offset:22016                         // 000000007C54: D81A5600 00003414
	ds_write_b32 v20, v53 offset:22560                         // 000000007C5C: D81A5820 00003514
	v_mfma_f32_16x16x16_bf16 v[228:231], v[114:115], v[148:149], v[228:231]// 000000007C64: D3E100E4 07932972
	v_mfma_f32_16x16x16_bf16 v[232:235], v[116:117], v[148:149], v[232:235]// 000000007C6C: D3E100E8 07A32974
	ds_write_b32 v15, v84 offset:4352                          // 000000007C74: D81A1100 0000540F
	ds_write_b32 v15, v85 offset:5408                          // 000000007C7C: D81A1520 0000550F
	v_mfma_f32_16x16x16_bf16 v[236:239], v[118:119], v[148:149], v[236:239]// 000000007C84: D3E100EC 07B32976
	v_mfma_f32_16x16x16_bf16 v[240:243], v[120:121], v[148:149], v[240:243]// 000000007C8C: D3E100F0 07C32978
	ds_write_b32 v15, v86 offset:4480                          // 000000007C94: D81A1180 0000560F
	ds_write_b32 v15, v87 offset:5536                          // 000000007C9C: D81A15A0 0000570F
	v_mfma_f32_16x16x16_bf16 v[244:247], v[122:123], v[148:149], v[244:247]// 000000007CA4: D3E100F4 07D3297A
	s_nop 0                                                    // 000000007CAC: BF800000
	s_nop 0                                                    // 000000007CB0: BF800000
	s_nop 0                                                    // 000000007CB4: BF800000
	s_barrier                                                  // 000000007CB8: BF8A0000
	v_mfma_f32_16x16x16_bf16 a[160:163], a[144:145], v[72:73], a[160:163]// 000000007CBC: D3E180A0 0E829190
	ds_read_b32 v124, v23 offset:50688                         // 000000007CC4: D86CC600 7C000017
	ds_read_b32 v150, v23 offset:50944                         // 000000007CCC: D86CC700 96000017
	v_mfma_f32_16x16x16_bf16 a[164:167], a[146:147], v[72:73], a[164:167]// 000000007CD4: D3E180A4 0E929192
	global_atomic_pk_add_bf16 v6, v136, s[32:33]               // 000000007CDC: DD488000 00208806
	v_mfma_f32_16x16x16_bf16 a[168:171], a[148:149], v[72:73], a[168:171]// 000000007CE4: D3E180A8 0EA29194
	s_waitcnt lgkmcnt(6)                                       // 000000007CEC: BF8CC67F
	s_barrier                                                  // 000000007CF0: BF8A0000
	v_mfma_f32_16x16x16_bf16 a[172:175], a[150:151], v[72:73], a[172:175]// 000000007CF4: D3E180AC 0EB29196
	v_mfma_f32_16x16x16_bf16 a[176:179], a[152:153], v[72:73], a[176:179]// 000000007CFC: D3E180B0 0EC29198
	ds_read_b128 v[48:51], v19 offset:17408                    // 000000007D04: D9FE4400 30000013
	v_mfma_f32_16x16x16_bf16 a[180:183], a[154:155], v[72:73], a[180:183]// 000000007D0C: D3E180B4 0ED2919A
	v_mfma_f32_16x16x16_bf16 a[184:187], a[156:157], v[72:73], a[184:187]// 000000007D14: D3E180B8 0EE2919C
	ds_read_b128 v[52:55], v19 offset:18560                    // 000000007D1C: D9FE4880 34000013
	v_mfma_f32_16x16x16_bf16 a[188:191], a[158:159], v[72:73], a[188:191]// 000000007D24: D3E180BC 0EF2919E
	global_atomic_pk_add_bf16 v8, v137, s[32:33]               // 000000007D2C: DD488000 00208908
	v_mfma_f32_16x16x16_bf16 a[192:195], a[144:145], v[74:75], a[192:195]// 000000007D34: D3E180C0 0F029590
	ds_read_b128 v[56:59], v19 offset:19712                    // 000000007D3C: D9FE4D00 38000013
	v_mfma_f32_16x16x16_bf16 a[196:199], a[146:147], v[74:75], a[196:199]// 000000007D44: D3E180C4 0F129592
	v_mfma_f32_16x16x16_bf16 a[200:203], a[148:149], v[74:75], a[200:203]// 000000007D4C: D3E180C8 0F229594
	ds_read_b128 v[60:63], v19 offset:20864                    // 000000007D54: D9FE5180 3C000013
	v_mfma_f32_16x16x16_bf16 a[204:207], a[150:151], v[74:75], a[204:207]// 000000007D5C: D3E180CC 0F329596
	v_mfma_f32_16x16x16_bf16 a[208:211], a[152:153], v[74:75], a[208:211]// 000000007D64: D3E180D0 0F429598
	ds_read_b128 v[64:67], v19 offset:22016                    // 000000007D6C: D9FE5600 40000013
	v_mfma_f32_16x16x16_bf16 a[212:215], a[154:155], v[74:75], a[212:215]// 000000007D74: D3E180D4 0F52959A
	global_atomic_pk_add_bf16 v6, v138, s[32:33] offset:128    // 000000007D7C: DD488080 00208A06
	v_mfma_f32_16x16x16_bf16 a[216:219], a[156:157], v[74:75], a[216:219]// 000000007D84: D3E180D8 0F62959C
	ds_read_b128 v[68:71], v19 offset:23168                    // 000000007D8C: D9FE5A80 44000013
	v_mfma_f32_16x16x16_bf16 a[220:223], a[158:159], v[74:75], a[220:223]// 000000007D94: D3E180DC 0F72959E
	v_mfma_f32_16x16x16_bf16 a[224:227], a[144:145], v[76:77], a[224:227]// 000000007D9C: D3E180E0 0F829990
	ds_write_b32 v15, v88 offset:13056                         // 000000007DA4: D81A3300 0000580F
	v_mfma_f32_16x16x16_bf16 a[228:231], a[146:147], v[76:77], a[228:231]// 000000007DAC: D3E180E4 0F929992
	v_mfma_f32_16x16x16_bf16 a[232:235], a[148:149], v[76:77], a[232:235]// 000000007DB4: D3E180E8 0FA29994
	ds_write_b32 v15, v89 offset:14112                         // 000000007DBC: D81A3720 0000590F
	v_mfma_f32_16x16x16_bf16 a[236:239], a[150:151], v[76:77], a[236:239]// 000000007DC4: D3E180EC 0FB29996
	global_atomic_pk_add_bf16 v8, v139, s[32:33] offset:128    // 000000007DCC: DD488080 00208B08
	v_mfma_f32_16x16x16_bf16 a[240:243], a[152:153], v[76:77], a[240:243]// 000000007DD4: D3E180F0 0FC29998
	ds_write_b32 v15, v90 offset:13184                         // 000000007DDC: D81A3380 00005A0F
	v_mfma_f32_16x16x16_bf16 a[244:247], a[154:155], v[76:77], a[244:247]// 000000007DE4: D3E180F4 0FD2999A
	v_mfma_f32_16x16x16_bf16 a[248:251], a[156:157], v[76:77], a[248:251]// 000000007DEC: D3E180F8 0FE2999C
	ds_write_b32 v15, v91 offset:14240                         // 000000007DF4: D81A37A0 00005B0F
	v_mfma_f32_16x16x16_bf16 a[252:255], a[158:159], v[76:77], a[252:255]// 000000007DFC: D3E180FC 0FF2999E
	s_waitcnt vmcnt(4) lgkmcnt(4)                              // 000000007E04: BF8C0474
	s_barrier                                                  // 000000007E08: BF8A0000
	v_mfma_f32_16x16x16_bf16 v[128:131], a[48:49], v[48:49], 0 // 000000007E0C: D3E10080 0A026130
	ds_read_b128 a[144:147], v12                               // 000000007E14: DBFE0000 9000000C
	buffer_load_dword v32, v1, s[8:11], 0 idxen                // 000000007E1C: E0502000 80022001
	v_mfma_f32_16x16x16_bf16 v[128:131], a[52:53], v[50:51], v[128:131]// 000000007E24: D3E10080 0E026534
	v_mul_f32_e32 v124, s49, v124                              // 000000007E2C: 0AF8F831
	s_nop 0                                                    // 000000007E30: BF800000
	v_mfma_f32_16x16x16_bf16 v[128:131], a[56:57], v[52:53], v[128:131]// 000000007E34: D3E10080 0E026938
	ds_read_b128 a[148:151], v12 offset:512                    // 000000007E3C: DBFE0200 9400000C
	buffer_load_dword v33, v2, s[8:11], 0 idxen                // 000000007E44: E0502000 80022102
	v_mfma_f32_16x16x16_bf16 v[128:131], a[60:61], v[54:55], v[128:131]// 000000007E4C: D3E10080 0E026D3C
	v_mfma_f32_16x16x16_bf16 v[128:131], a[64:65], v[56:57], v[128:131]// 000000007E54: D3E10080 0E027140
	ds_read_b128 a[152:155], v12 offset:2176                   // 000000007E5C: DBFE0880 9800000C
	buffer_load_dword v34, v3, s[8:11], 0 idxen                // 000000007E64: E0502000 80022203
	v_mfma_f32_16x16x16_bf16 v[128:131], a[68:69], v[58:59], v[128:131]// 000000007E6C: D3E10080 0E027544
	v_perm_b32 v84, v37, v36, s63                              // 000000007E74: D1ED0054 00FE4925
	v_perm_b32 v85, v37, v36, s64                              // 000000007E7C: D1ED0055 01024925
	v_mfma_f32_16x16x16_bf16 v[128:131], a[72:73], v[60:61], v[128:131]// 000000007E84: D3E10080 0E027948
	ds_read_b128 a[156:159], v12 offset:2688                   // 000000007E8C: DBFE0A80 9C00000C
	buffer_load_dword v35, v4, s[8:11], 0 idxen                // 000000007E94: E0502000 80022304
	v_mfma_f32_16x16x16_bf16 v[128:131], a[76:77], v[62:63], v[128:131]// 000000007E9C: D3E10080 0E027D4C
	v_perm_b32 v86, v39, v38, s63                              // 000000007EA4: D1ED0056 00FE4D27
	v_perm_b32 v87, v39, v38, s64                              // 000000007EAC: D1ED0057 01024D27
	v_mfma_f32_16x16x16_bf16 v[128:131], a[80:81], v[64:65], v[128:131]// 000000007EB4: D3E10080 0E028150
	ds_read_b128 v[92:95], v12 offset:8704                     // 000000007EBC: D9FE2200 5C00000C
	buffer_load_dword v40, v1, s[20:23], 0 idxen               // 000000007EC4: E0502000 80052801
	v_mfma_f32_16x16x16_bf16 v[128:131], a[84:85], v[66:67], v[128:131]// 000000007ECC: D3E10080 0E028554
	v_perm_b32 v88, v45, v44, s63                              // 000000007ED4: D1ED0058 00FE592D
	v_perm_b32 v89, v45, v44, s64                              // 000000007EDC: D1ED0059 0102592D
	v_mfma_f32_16x16x16_bf16 v[128:131], a[88:89], v[68:69], v[128:131]// 000000007EE4: D3E10080 0E028958
	ds_read_b128 v[96:99], v12 offset:9216                     // 000000007EEC: D9FE2400 6000000C
	buffer_load_dword v41, v2, s[20:23], 0 idxen               // 000000007EF4: E0502000 80052902
	v_mfma_f32_16x16x16_bf16 v[128:131], a[92:93], v[70:71], v[128:131]// 000000007EFC: D3E10080 0E028D5C
	v_perm_b32 v90, v47, v46, s63                              // 000000007F04: D1ED005A 00FE5D2F
	v_perm_b32 v91, v47, v46, s64                              // 000000007F0C: D1ED005B 01025D2F
	v_mfma_f32_16x16x16_bf16 v[132:135], a[50:51], v[48:49], 0 // 000000007F14: D3E10084 0A026132
	ds_read_b128 v[100:103], v12 offset:10880                  // 000000007F1C: D9FE2A80 6400000C
	buffer_load_dword v42, v3, s[20:23], 0 idxen               // 000000007F24: E0502000 80052A03
	v_mfma_f32_16x16x16_bf16 v[132:135], a[54:55], v[50:51], v[132:135]// 000000007F2C: D3E10084 0E126536
	v_mov_b32_dpp v127, v124 quad_perm:[3,3,3,3] row_mask:0xf bank_mask:0xf// 000000007F34: 7EFE02FA FF00FF7C
	v_mov_b32_dpp v126, v124 quad_perm:[2,2,2,2] row_mask:0xf bank_mask:0xf// 000000007F3C: 7EFC02FA FF00AA7C
	v_mfma_f32_16x16x16_bf16 v[132:135], a[58:59], v[52:53], v[132:135]// 000000007F44: D3E10084 0E12693A
	ds_read_b128 v[104:107], v12 offset:11392                  // 000000007F4C: D9FE2C80 6800000C
	buffer_load_dword v43, v4, s[20:23], 0 idxen               // 000000007F54: E0502000 80052B04
	v_mfma_f32_16x16x16_bf16 v[132:135], a[62:63], v[54:55], v[132:135]// 000000007F5C: D3E10084 0E126D3E
	v_mov_b32_dpp v125, v124 quad_perm:[1,1,1,1] row_mask:0xf bank_mask:0xf// 000000007F64: 7EFA02FA FF00557C
	v_mov_b32_dpp v124, v124 quad_perm:[0,0,0,0] row_mask:0xf bank_mask:0xf// 000000007F6C: 7EF802FA FF00007C
	s_add_u32 s60, 64, s59                                     // 000000007F74: 803C3BC0
	v_mfma_f32_16x16x16_bf16 v[132:135], a[66:67], v[56:57], v[132:135]// 000000007F78: D3E10084 0E127142
	buffer_load_dword v11, s[24:27], 0 idxen lds               // 000000007F80: E0512000 8006000B
	v_mfma_f32_16x16x16_bf16 v[132:135], a[70:71], v[58:59], v[132:135]// 000000007F88: D3E10084 0E127546
	s_cmp_lt_u32 s60, s58                                      // 000000007F90: BF0A3A3C
	s_cselect_b32 s68, s68, 0                                  // 000000007F94: 85448044
	s_cselect_b32 s69, s69, 0                                  // 000000007F98: 85458045
	v_mfma_f32_16x16x16_bf16 v[132:135], a[74:75], v[60:61], v[132:135]// 000000007F9C: D3E10084 0E12794A
	s_add_u32 s8, s68, s8                                      // 000000007FA4: 80080844
	s_addc_u32 s9, 0, s9                                       // 000000007FA8: 82090980
	v_mfma_f32_16x16x16_bf16 v[132:135], a[78:79], v[62:63], v[132:135]// 000000007FAC: D3E10084 0E127D4E
	s_add_u32 s20, s68, s20                                    // 000000007FB4: 80141444
	s_addc_u32 s21, 0, s21                                     // 000000007FB8: 82151580
	v_mfma_f32_16x16x16_bf16 v[132:135], a[82:83], v[64:65], v[132:135]// 000000007FBC: D3E10084 0E128152
	s_mov_b32 m0, s77                                          // 000000007FC4: BEFC004D
	v_add_u32_e32 v11, s69, v11                                // 000000007FC8: 68161645
	v_mfma_f32_16x16x16_bf16 v[132:135], a[86:87], v[66:67], v[132:135]// 000000007FCC: D3E10084 0E128556
	s_cmp_ge_u32 s59, 16                                       // 000000007FD4: BF09903B
	s_cselect_b32 s66, s67, s66                                // 000000007FD8: 85424243
	v_mfma_f32_16x16x16_bf16 v[132:135], a[90:91], v[68:69], v[132:135]// 000000007FDC: D3E10084 0E12895A
	s_addk_i32 s59, 0x10                                       // 000000007FE4: B73B0010
	s_nop 0                                                    // 000000007FE8: BF800000
	s_cmp_lt_i32 s59, s58                                      // 000000007FEC: BF043A3B
	v_mfma_f32_16x16x16_bf16 v[132:135], a[94:95], v[70:71], v[132:135]// 000000007FF0: D3E10084 0E128D5E
	s_cbranch_scc0 label_0BF2                                  // 000000007FF8: BF84FB73
	s_branch label_0BF5                                        // 000000007FFC: BF82FB75

0000000000008000 <label_1080>:
	s_add_u32 s32, s66, s32                                    // 000000008000: 80202042
	s_addc_u32 s33, 0, s33                                     // 000000008004: 82212180
	v_lshrrev_b32_e32 v28, 5, v0                               // 000000008008: 20380085
	v_mul_i32_i24_e32 v27, 0x42, v28                           // 00000000800C: 0C3638FF 00000042
	v_and_b32_e32 v28, 31, v0                                  // 000000008014: 2638009F
	v_mul_i32_i24_e32 v29, 2, v28                              // 000000008018: 0C3A3882
	v_add_u32_e32 v27, v29, v27                                // 00000000801C: 6836371D
	s_mul_i32 s60, s47, 0x420                                  // 000000008020: 923CFF2F 00000420
	v_add_u32_e32 v27, s60, v27                                // 000000008028: 6836363C
	v_lshlrev_b32_e32 v27, 2, v27                              // 00000000802C: 24363682
	v_mul_f32_e32 v128, s48, v128                              // 000000008030: 0B010030
	v_mul_f32_e32 v129, s48, v129                              // 000000008034: 0B030230
	v_mul_f32_e32 v130, s48, v130                              // 000000008038: 0B050430
	v_mul_f32_e32 v131, s48, v131                              // 00000000803C: 0B070630
	v_mul_f32_e32 v132, s48, v132                              // 000000008040: 0B090830
	v_mul_f32_e32 v133, s48, v133                              // 000000008044: 0B0B0A30
	v_mul_f32_e32 v134, s48, v134                              // 000000008048: 0B0D0C30
	v_mul_f32_e32 v135, s48, v135                              // 00000000804C: 0B0F0E30
	v_perm_b32 v128, v129, v128, s64                           // 000000008050: D1ED0080 01030181
	v_perm_b32 v129, v131, v130, s64                           // 000000008058: D1ED0081 01030583
	v_perm_b32 v130, v133, v132, s64                           // 000000008060: D1ED0082 01030985
	v_perm_b32 v131, v135, v134, s64                           // 000000008068: D1ED0083 01030D87
	ds_write_b64 v22, v[128:129] offset:24320                  // 000000008070: D89A5F00 00008016
	ds_write_b64 v22, v[130:131] offset:24864                  // 000000008078: D89A6120 00008216
	s_waitcnt lgkmcnt(0)                                       // 000000008080: BF8CC07F
	s_barrier                                                  // 000000008084: BF8A0000
	ds_read_b32 v136, v21 offset:24320                         // 000000008088: D86C5F00 88000015
	ds_read_b32 v137, v21 offset:24336                         // 000000008090: D86C5F10 89000015
	ds_read_b32 v138, v21 offset:26496                         // 000000008098: D86C6780 8A000015
	ds_read_b32 v139, v21 offset:26512                         // 0000000080A0: D86C6790 8B000015
	s_waitcnt lgkmcnt(0)                                       // 0000000080A8: BF8CC07F
	s_barrier                                                  // 0000000080AC: BF8A0000
	global_atomic_pk_add_bf16 v6, v136, s[32:33]               // 0000000080B0: DD488000 00208806
	global_atomic_pk_add_bf16 v8, v137, s[32:33]               // 0000000080B8: DD488000 00208908
	global_atomic_pk_add_bf16 v6, v138, s[32:33] offset:128    // 0000000080C0: DD488080 00208A06
	global_atomic_pk_add_bf16 v8, v139, s[32:33] offset:128    // 0000000080C8: DD488080 00208B08
	v_lshrrev_b32_e32 v28, 4, v0                               // 0000000080D0: 20380084
	v_mul_i32_i24_e32 v26, 2, v28                              // 0000000080D4: 0C343882
	v_and_b32_e32 v28, 15, v0                                  // 0000000080D8: 2638008F
	v_mul_i32_i24_e32 v29, 0x42, v28                           // 0000000080DC: 0C3A38FF 00000042
	v_add_u32_e32 v26, v29, v26                                // 0000000080E4: 6834351D
	s_mul_i32 s60, s47, 0x420                                  // 0000000080E8: 923CFF2F 00000420
	v_add_u32_e32 v26, s60, v26                                // 0000000080F0: 6834343C
	v_lshlrev_b32_e32 v26, 2, v26                              // 0000000080F4: 24343482
	v_accvgpr_read_b32 v30, a160                               // 0000000080F8: D3D8401E 180001A0
	v_accvgpr_read_b32 v31, a161                               // 000000008100: D3D8401F 180001A1
	v_mul_f32_e32 v30, s48, v30                                // 000000008108: 0A3C3C30
	v_mul_f32_e32 v31, s48, v31                                // 00000000810C: 0A3E3E30
	v_cmp_u_f32_e64 s[74:75], v30, v30                         // 000000008110: D048004A 00023D1E
	v_bfe_u32 v248, v30, 16, 1                                 // 000000008118: D1C800F8 0205211E
	v_add3_u32 v248, v30, v248, v251                           // 000000008120: D1FF00F8 07EFF11E
	v_cndmask_b32_e64 v28, v248, v250, s[74:75]                // 000000008128: D100001C 012BF5F8
	v_lshrrev_b32_e32 v28, 16, v28                             // 000000008130: 20383890
	v_cmp_u_f32_e64 s[74:75], v31, v31                         // 000000008134: D048004A 00023F1F
	v_bfe_u32 v248, v31, 16, 1                                 // 00000000813C: D1C800F8 0205211F
	v_add3_u32 v248, v31, v248, v251                           // 000000008144: D1FF00F8 07EFF11F
	v_cndmask_b32_e64 v29, v248, v250, s[74:75]                // 00000000814C: D100001D 012BF5F8
	v_and_or_b32 v48, v29, v249, v28                           // 000000008154: D2010030 0473F31D
	v_accvgpr_read_b32 v30, a162                               // 00000000815C: D3D8401E 180001A2
	v_accvgpr_read_b32 v31, a163                               // 000000008164: D3D8401F 180001A3
	v_mul_f32_e32 v30, s48, v30                                // 00000000816C: 0A3C3C30
	v_mul_f32_e32 v31, s48, v31                                // 000000008170: 0A3E3E30
	v_cmp_u_f32_e64 s[74:75], v30, v30                         // 000000008174: D048004A 00023D1E
	v_bfe_u32 v248, v30, 16, 1                                 // 00000000817C: D1C800F8 0205211E
	v_add3_u32 v248, v30, v248, v251                           // 000000008184: D1FF00F8 07EFF11E
	v_cndmask_b32_e64 v28, v248, v250, s[74:75]                // 00000000818C: D100001C 012BF5F8
	v_lshrrev_b32_e32 v28, 16, v28                             // 000000008194: 20383890
	v_cmp_u_f32_e64 s[74:75], v31, v31                         // 000000008198: D048004A 00023F1F
	v_bfe_u32 v248, v31, 16, 1                                 // 0000000081A0: D1C800F8 0205211F
	v_add3_u32 v248, v31, v248, v251                           // 0000000081A8: D1FF00F8 07EFF11F
	v_cndmask_b32_e64 v29, v248, v250, s[74:75]                // 0000000081B0: D100001D 012BF5F8
	v_and_or_b32 v49, v29, v249, v28                           // 0000000081B8: D2010031 0473F31D
	v_accvgpr_read_b32 v30, a164                               // 0000000081C0: D3D8401E 180001A4
	v_accvgpr_read_b32 v31, a165                               // 0000000081C8: D3D8401F 180001A5
	v_mul_f32_e32 v30, s48, v30                                // 0000000081D0: 0A3C3C30
	v_mul_f32_e32 v31, s48, v31                                // 0000000081D4: 0A3E3E30
	v_cmp_u_f32_e64 s[74:75], v30, v30                         // 0000000081D8: D048004A 00023D1E
	v_bfe_u32 v248, v30, 16, 1                                 // 0000000081E0: D1C800F8 0205211E
	v_add3_u32 v248, v30, v248, v251                           // 0000000081E8: D1FF00F8 07EFF11E
	v_cndmask_b32_e64 v28, v248, v250, s[74:75]                // 0000000081F0: D100001C 012BF5F8
	v_lshrrev_b32_e32 v28, 16, v28                             // 0000000081F8: 20383890
	v_cmp_u_f32_e64 s[74:75], v31, v31                         // 0000000081FC: D048004A 00023F1F
	v_bfe_u32 v248, v31, 16, 1                                 // 000000008204: D1C800F8 0205211F
	v_add3_u32 v248, v31, v248, v251                           // 00000000820C: D1FF00F8 07EFF11F
	v_cndmask_b32_e64 v29, v248, v250, s[74:75]                // 000000008214: D100001D 012BF5F8
	v_and_or_b32 v50, v29, v249, v28                           // 00000000821C: D2010032 0473F31D
	v_accvgpr_read_b32 v30, a166                               // 000000008224: D3D8401E 180001A6
	v_accvgpr_read_b32 v31, a167                               // 00000000822C: D3D8401F 180001A7
	v_mul_f32_e32 v30, s48, v30                                // 000000008234: 0A3C3C30
	v_mul_f32_e32 v31, s48, v31                                // 000000008238: 0A3E3E30
	v_cmp_u_f32_e64 s[74:75], v30, v30                         // 00000000823C: D048004A 00023D1E
	v_bfe_u32 v248, v30, 16, 1                                 // 000000008244: D1C800F8 0205211E
	v_add3_u32 v248, v30, v248, v251                           // 00000000824C: D1FF00F8 07EFF11E
	v_cndmask_b32_e64 v28, v248, v250, s[74:75]                // 000000008254: D100001C 012BF5F8
	v_lshrrev_b32_e32 v28, 16, v28                             // 00000000825C: 20383890
	v_cmp_u_f32_e64 s[74:75], v31, v31                         // 000000008260: D048004A 00023F1F
	v_bfe_u32 v248, v31, 16, 1                                 // 000000008268: D1C800F8 0205211F
	v_add3_u32 v248, v31, v248, v251                           // 000000008270: D1FF00F8 07EFF11F
	v_cndmask_b32_e64 v29, v248, v250, s[74:75]                // 000000008278: D100001D 012BF5F8
	v_and_or_b32 v51, v29, v249, v28                           // 000000008280: D2010033 0473F31D
	v_accvgpr_read_b32 v30, a168                               // 000000008288: D3D8401E 180001A8
	v_accvgpr_read_b32 v31, a169                               // 000000008290: D3D8401F 180001A9
	v_mul_f32_e32 v30, s48, v30                                // 000000008298: 0A3C3C30
	v_mul_f32_e32 v31, s48, v31                                // 00000000829C: 0A3E3E30
	v_cmp_u_f32_e64 s[74:75], v30, v30                         // 0000000082A0: D048004A 00023D1E
	v_bfe_u32 v248, v30, 16, 1                                 // 0000000082A8: D1C800F8 0205211E
	v_add3_u32 v248, v30, v248, v251                           // 0000000082B0: D1FF00F8 07EFF11E
	v_cndmask_b32_e64 v28, v248, v250, s[74:75]                // 0000000082B8: D100001C 012BF5F8
	v_lshrrev_b32_e32 v28, 16, v28                             // 0000000082C0: 20383890
	v_cmp_u_f32_e64 s[74:75], v31, v31                         // 0000000082C4: D048004A 00023F1F
	v_bfe_u32 v248, v31, 16, 1                                 // 0000000082CC: D1C800F8 0205211F
	v_add3_u32 v248, v31, v248, v251                           // 0000000082D4: D1FF00F8 07EFF11F
	v_cndmask_b32_e64 v29, v248, v250, s[74:75]                // 0000000082DC: D100001D 012BF5F8
	v_and_or_b32 v52, v29, v249, v28                           // 0000000082E4: D2010034 0473F31D
	v_accvgpr_read_b32 v30, a170                               // 0000000082EC: D3D8401E 180001AA
	v_accvgpr_read_b32 v31, a171                               // 0000000082F4: D3D8401F 180001AB
	v_mul_f32_e32 v30, s48, v30                                // 0000000082FC: 0A3C3C30
	v_mul_f32_e32 v31, s48, v31                                // 000000008300: 0A3E3E30
	v_cmp_u_f32_e64 s[74:75], v30, v30                         // 000000008304: D048004A 00023D1E
	v_bfe_u32 v248, v30, 16, 1                                 // 00000000830C: D1C800F8 0205211E
	v_add3_u32 v248, v30, v248, v251                           // 000000008314: D1FF00F8 07EFF11E
	v_cndmask_b32_e64 v28, v248, v250, s[74:75]                // 00000000831C: D100001C 012BF5F8
	v_lshrrev_b32_e32 v28, 16, v28                             // 000000008324: 20383890
	v_cmp_u_f32_e64 s[74:75], v31, v31                         // 000000008328: D048004A 00023F1F
	v_bfe_u32 v248, v31, 16, 1                                 // 000000008330: D1C800F8 0205211F
	v_add3_u32 v248, v31, v248, v251                           // 000000008338: D1FF00F8 07EFF11F
	v_cndmask_b32_e64 v29, v248, v250, s[74:75]                // 000000008340: D100001D 012BF5F8
	v_and_or_b32 v53, v29, v249, v28                           // 000000008348: D2010035 0473F31D
	v_accvgpr_read_b32 v30, a172                               // 000000008350: D3D8401E 180001AC
	v_accvgpr_read_b32 v31, a173                               // 000000008358: D3D8401F 180001AD
	v_mul_f32_e32 v30, s48, v30                                // 000000008360: 0A3C3C30
	v_mul_f32_e32 v31, s48, v31                                // 000000008364: 0A3E3E30
	v_cmp_u_f32_e64 s[74:75], v30, v30                         // 000000008368: D048004A 00023D1E
	v_bfe_u32 v248, v30, 16, 1                                 // 000000008370: D1C800F8 0205211E
	v_add3_u32 v248, v30, v248, v251                           // 000000008378: D1FF00F8 07EFF11E
	v_cndmask_b32_e64 v28, v248, v250, s[74:75]                // 000000008380: D100001C 012BF5F8
	v_lshrrev_b32_e32 v28, 16, v28                             // 000000008388: 20383890
	v_cmp_u_f32_e64 s[74:75], v31, v31                         // 00000000838C: D048004A 00023F1F
	v_bfe_u32 v248, v31, 16, 1                                 // 000000008394: D1C800F8 0205211F
	v_add3_u32 v248, v31, v248, v251                           // 00000000839C: D1FF00F8 07EFF11F
	v_cndmask_b32_e64 v29, v248, v250, s[74:75]                // 0000000083A4: D100001D 012BF5F8
	v_and_or_b32 v54, v29, v249, v28                           // 0000000083AC: D2010036 0473F31D
	v_accvgpr_read_b32 v30, a174                               // 0000000083B4: D3D8401E 180001AE
	v_accvgpr_read_b32 v31, a175                               // 0000000083BC: D3D8401F 180001AF
	v_mul_f32_e32 v30, s48, v30                                // 0000000083C4: 0A3C3C30
	v_mul_f32_e32 v31, s48, v31                                // 0000000083C8: 0A3E3E30
	v_cmp_u_f32_e64 s[74:75], v30, v30                         // 0000000083CC: D048004A 00023D1E
	v_bfe_u32 v248, v30, 16, 1                                 // 0000000083D4: D1C800F8 0205211E
	v_add3_u32 v248, v30, v248, v251                           // 0000000083DC: D1FF00F8 07EFF11E
	v_cndmask_b32_e64 v28, v248, v250, s[74:75]                // 0000000083E4: D100001C 012BF5F8
	v_lshrrev_b32_e32 v28, 16, v28                             // 0000000083EC: 20383890
	v_cmp_u_f32_e64 s[74:75], v31, v31                         // 0000000083F0: D048004A 00023F1F
	v_bfe_u32 v248, v31, 16, 1                                 // 0000000083F8: D1C800F8 0205211F
	v_add3_u32 v248, v31, v248, v251                           // 000000008400: D1FF00F8 07EFF11F
	v_cndmask_b32_e64 v29, v248, v250, s[74:75]                // 000000008408: D100001D 012BF5F8
	v_and_or_b32 v55, v29, v249, v28                           // 000000008410: D2010037 0473F31D
	v_accvgpr_read_b32 v30, a176                               // 000000008418: D3D8401E 180001B0
	v_accvgpr_read_b32 v31, a177                               // 000000008420: D3D8401F 180001B1
	v_mul_f32_e32 v30, s48, v30                                // 000000008428: 0A3C3C30
	v_mul_f32_e32 v31, s48, v31                                // 00000000842C: 0A3E3E30
	v_cmp_u_f32_e64 s[74:75], v30, v30                         // 000000008430: D048004A 00023D1E
	v_bfe_u32 v248, v30, 16, 1                                 // 000000008438: D1C800F8 0205211E
	v_add3_u32 v248, v30, v248, v251                           // 000000008440: D1FF00F8 07EFF11E
	v_cndmask_b32_e64 v28, v248, v250, s[74:75]                // 000000008448: D100001C 012BF5F8
	v_lshrrev_b32_e32 v28, 16, v28                             // 000000008450: 20383890
	v_cmp_u_f32_e64 s[74:75], v31, v31                         // 000000008454: D048004A 00023F1F
	v_bfe_u32 v248, v31, 16, 1                                 // 00000000845C: D1C800F8 0205211F
	v_add3_u32 v248, v31, v248, v251                           // 000000008464: D1FF00F8 07EFF11F
	v_cndmask_b32_e64 v29, v248, v250, s[74:75]                // 00000000846C: D100001D 012BF5F8
	v_and_or_b32 v56, v29, v249, v28                           // 000000008474: D2010038 0473F31D
	v_accvgpr_read_b32 v30, a178                               // 00000000847C: D3D8401E 180001B2
	v_accvgpr_read_b32 v31, a179                               // 000000008484: D3D8401F 180001B3
	v_mul_f32_e32 v30, s48, v30                                // 00000000848C: 0A3C3C30
	v_mul_f32_e32 v31, s48, v31                                // 000000008490: 0A3E3E30
	v_cmp_u_f32_e64 s[74:75], v30, v30                         // 000000008494: D048004A 00023D1E
	v_bfe_u32 v248, v30, 16, 1                                 // 00000000849C: D1C800F8 0205211E
	v_add3_u32 v248, v30, v248, v251                           // 0000000084A4: D1FF00F8 07EFF11E
	v_cndmask_b32_e64 v28, v248, v250, s[74:75]                // 0000000084AC: D100001C 012BF5F8
	v_lshrrev_b32_e32 v28, 16, v28                             // 0000000084B4: 20383890
	v_cmp_u_f32_e64 s[74:75], v31, v31                         // 0000000084B8: D048004A 00023F1F
	v_bfe_u32 v248, v31, 16, 1                                 // 0000000084C0: D1C800F8 0205211F
	v_add3_u32 v248, v31, v248, v251                           // 0000000084C8: D1FF00F8 07EFF11F
	v_cndmask_b32_e64 v29, v248, v250, s[74:75]                // 0000000084D0: D100001D 012BF5F8
	v_and_or_b32 v57, v29, v249, v28                           // 0000000084D8: D2010039 0473F31D
	v_accvgpr_read_b32 v30, a180                               // 0000000084E0: D3D8401E 180001B4
	v_accvgpr_read_b32 v31, a181                               // 0000000084E8: D3D8401F 180001B5
	v_mul_f32_e32 v30, s48, v30                                // 0000000084F0: 0A3C3C30
	v_mul_f32_e32 v31, s48, v31                                // 0000000084F4: 0A3E3E30
	v_cmp_u_f32_e64 s[74:75], v30, v30                         // 0000000084F8: D048004A 00023D1E
	v_bfe_u32 v248, v30, 16, 1                                 // 000000008500: D1C800F8 0205211E
	v_add3_u32 v248, v30, v248, v251                           // 000000008508: D1FF00F8 07EFF11E
	v_cndmask_b32_e64 v28, v248, v250, s[74:75]                // 000000008510: D100001C 012BF5F8
	v_lshrrev_b32_e32 v28, 16, v28                             // 000000008518: 20383890
	v_cmp_u_f32_e64 s[74:75], v31, v31                         // 00000000851C: D048004A 00023F1F
	v_bfe_u32 v248, v31, 16, 1                                 // 000000008524: D1C800F8 0205211F
	v_add3_u32 v248, v31, v248, v251                           // 00000000852C: D1FF00F8 07EFF11F
	v_cndmask_b32_e64 v29, v248, v250, s[74:75]                // 000000008534: D100001D 012BF5F8
	v_and_or_b32 v58, v29, v249, v28                           // 00000000853C: D201003A 0473F31D
	v_accvgpr_read_b32 v30, a182                               // 000000008544: D3D8401E 180001B6
	v_accvgpr_read_b32 v31, a183                               // 00000000854C: D3D8401F 180001B7
	v_mul_f32_e32 v30, s48, v30                                // 000000008554: 0A3C3C30
	v_mul_f32_e32 v31, s48, v31                                // 000000008558: 0A3E3E30
	v_cmp_u_f32_e64 s[74:75], v30, v30                         // 00000000855C: D048004A 00023D1E
	v_bfe_u32 v248, v30, 16, 1                                 // 000000008564: D1C800F8 0205211E
	v_add3_u32 v248, v30, v248, v251                           // 00000000856C: D1FF00F8 07EFF11E
	v_cndmask_b32_e64 v28, v248, v250, s[74:75]                // 000000008574: D100001C 012BF5F8
	v_lshrrev_b32_e32 v28, 16, v28                             // 00000000857C: 20383890
	v_cmp_u_f32_e64 s[74:75], v31, v31                         // 000000008580: D048004A 00023F1F
	v_bfe_u32 v248, v31, 16, 1                                 // 000000008588: D1C800F8 0205211F
	v_add3_u32 v248, v31, v248, v251                           // 000000008590: D1FF00F8 07EFF11F
	v_cndmask_b32_e64 v29, v248, v250, s[74:75]                // 000000008598: D100001D 012BF5F8
	v_and_or_b32 v59, v29, v249, v28                           // 0000000085A0: D201003B 0473F31D
	v_accvgpr_read_b32 v30, a184                               // 0000000085A8: D3D8401E 180001B8
	v_accvgpr_read_b32 v31, a185                               // 0000000085B0: D3D8401F 180001B9
	v_mul_f32_e32 v30, s48, v30                                // 0000000085B8: 0A3C3C30
	v_mul_f32_e32 v31, s48, v31                                // 0000000085BC: 0A3E3E30
	v_cmp_u_f32_e64 s[74:75], v30, v30                         // 0000000085C0: D048004A 00023D1E
	v_bfe_u32 v248, v30, 16, 1                                 // 0000000085C8: D1C800F8 0205211E
	v_add3_u32 v248, v30, v248, v251                           // 0000000085D0: D1FF00F8 07EFF11E
	v_cndmask_b32_e64 v28, v248, v250, s[74:75]                // 0000000085D8: D100001C 012BF5F8
	v_lshrrev_b32_e32 v28, 16, v28                             // 0000000085E0: 20383890
	v_cmp_u_f32_e64 s[74:75], v31, v31                         // 0000000085E4: D048004A 00023F1F
	v_bfe_u32 v248, v31, 16, 1                                 // 0000000085EC: D1C800F8 0205211F
	v_add3_u32 v248, v31, v248, v251                           // 0000000085F4: D1FF00F8 07EFF11F
	v_cndmask_b32_e64 v29, v248, v250, s[74:75]                // 0000000085FC: D100001D 012BF5F8
	v_and_or_b32 v60, v29, v249, v28                           // 000000008604: D201003C 0473F31D
	v_accvgpr_read_b32 v30, a186                               // 00000000860C: D3D8401E 180001BA
	v_accvgpr_read_b32 v31, a187                               // 000000008614: D3D8401F 180001BB
	v_mul_f32_e32 v30, s48, v30                                // 00000000861C: 0A3C3C30
	v_mul_f32_e32 v31, s48, v31                                // 000000008620: 0A3E3E30
	v_cmp_u_f32_e64 s[74:75], v30, v30                         // 000000008624: D048004A 00023D1E
	v_bfe_u32 v248, v30, 16, 1                                 // 00000000862C: D1C800F8 0205211E
	v_add3_u32 v248, v30, v248, v251                           // 000000008634: D1FF00F8 07EFF11E
	v_cndmask_b32_e64 v28, v248, v250, s[74:75]                // 00000000863C: D100001C 012BF5F8
	v_lshrrev_b32_e32 v28, 16, v28                             // 000000008644: 20383890
	v_cmp_u_f32_e64 s[74:75], v31, v31                         // 000000008648: D048004A 00023F1F
	v_bfe_u32 v248, v31, 16, 1                                 // 000000008650: D1C800F8 0205211F
	v_add3_u32 v248, v31, v248, v251                           // 000000008658: D1FF00F8 07EFF11F
	v_cndmask_b32_e64 v29, v248, v250, s[74:75]                // 000000008660: D100001D 012BF5F8
	v_and_or_b32 v61, v29, v249, v28                           // 000000008668: D201003D 0473F31D
	v_accvgpr_read_b32 v30, a188                               // 000000008670: D3D8401E 180001BC
	v_accvgpr_read_b32 v31, a189                               // 000000008678: D3D8401F 180001BD
	v_mul_f32_e32 v30, s48, v30                                // 000000008680: 0A3C3C30
	v_mul_f32_e32 v31, s48, v31                                // 000000008684: 0A3E3E30
	v_cmp_u_f32_e64 s[74:75], v30, v30                         // 000000008688: D048004A 00023D1E
	v_bfe_u32 v248, v30, 16, 1                                 // 000000008690: D1C800F8 0205211E
	v_add3_u32 v248, v30, v248, v251                           // 000000008698: D1FF00F8 07EFF11E
	v_cndmask_b32_e64 v28, v248, v250, s[74:75]                // 0000000086A0: D100001C 012BF5F8
	v_lshrrev_b32_e32 v28, 16, v28                             // 0000000086A8: 20383890
	v_cmp_u_f32_e64 s[74:75], v31, v31                         // 0000000086AC: D048004A 00023F1F
	v_bfe_u32 v248, v31, 16, 1                                 // 0000000086B4: D1C800F8 0205211F
	v_add3_u32 v248, v31, v248, v251                           // 0000000086BC: D1FF00F8 07EFF11F
	v_cndmask_b32_e64 v29, v248, v250, s[74:75]                // 0000000086C4: D100001D 012BF5F8
	v_and_or_b32 v62, v29, v249, v28                           // 0000000086CC: D201003E 0473F31D
	v_accvgpr_read_b32 v30, a190                               // 0000000086D4: D3D8401E 180001BE
	v_accvgpr_read_b32 v31, a191                               // 0000000086DC: D3D8401F 180001BF
	v_mul_f32_e32 v30, s48, v30                                // 0000000086E4: 0A3C3C30
	v_mul_f32_e32 v31, s48, v31                                // 0000000086E8: 0A3E3E30
	v_cmp_u_f32_e64 s[74:75], v30, v30                         // 0000000086EC: D048004A 00023D1E
	v_bfe_u32 v248, v30, 16, 1                                 // 0000000086F4: D1C800F8 0205211E
	v_add3_u32 v248, v30, v248, v251                           // 0000000086FC: D1FF00F8 07EFF11E
	v_cndmask_b32_e64 v28, v248, v250, s[74:75]                // 000000008704: D100001C 012BF5F8
	v_lshrrev_b32_e32 v28, 16, v28                             // 00000000870C: 20383890
	v_cmp_u_f32_e64 s[74:75], v31, v31                         // 000000008710: D048004A 00023F1F
	v_bfe_u32 v248, v31, 16, 1                                 // 000000008718: D1C800F8 0205211F
	v_add3_u32 v248, v31, v248, v251                           // 000000008720: D1FF00F8 07EFF11F
	v_cndmask_b32_e64 v29, v248, v250, s[74:75]                // 000000008728: D100001D 012BF5F8
	v_and_or_b32 v63, v29, v249, v28                           // 000000008730: D201003F 0473F31D
	ds_write_b64 v27, v[48:49]                                 // 000000008738: D89A0000 0000301B
	ds_write_b64 v27, v[50:51] offset:528                      // 000000008740: D89A0210 0000321B
	ds_write_b64 v27, v[52:53] offset:1056                     // 000000008748: D89A0420 0000341B
	ds_write_b64 v27, v[54:55] offset:1584                     // 000000008750: D89A0630 0000361B
	ds_write_b64 v27, v[56:57] offset:2112                     // 000000008758: D89A0840 0000381B
	ds_write_b64 v27, v[58:59] offset:2640                     // 000000008760: D89A0A50 00003A1B
	ds_write_b64 v27, v[60:61] offset:3168                     // 000000008768: D89A0C60 00003C1B
	ds_write_b64 v27, v[62:63] offset:3696                     // 000000008770: D89A0E70 00003E1B
	s_waitcnt lgkmcnt(0)                                       // 000000008778: BF8CC07F
	s_barrier                                                  // 00000000877C: BF8A0000
	ds_read_b64 v[48:49], v26                                  // 000000008780: D8EC0000 3000001A
	ds_read_b64 v[50:51], v26 offset:128                       // 000000008788: D8EC0080 3200001A
	ds_read_b64 v[52:53], v26 offset:32                        // 000000008790: D8EC0020 3400001A
	ds_read_b64 v[54:55], v26 offset:160                       // 000000008798: D8EC00A0 3600001A
	ds_read_b64 v[56:57], v26 offset:64                        // 0000000087A0: D8EC0040 3800001A
	ds_read_b64 v[58:59], v26 offset:192                       // 0000000087A8: D8EC00C0 3A00001A
	ds_read_b64 v[60:61], v26 offset:96                        // 0000000087B0: D8EC0060 3C00001A
	ds_read_b64 v[62:63], v26 offset:224                       // 0000000087B8: D8EC00E0 3E00001A
	s_waitcnt lgkmcnt(0)                                       // 0000000087C0: BF8CC07F
	buffer_store_dwordx4 v[48:51], v5, s[36:39], 0 idxen       // 0000000087C4: E07C2000 80093005
	v_add_u32_e32 v5, s46, v5                                  // 0000000087CC: 680A0A2E
	buffer_store_dwordx4 v[52:55], v5, s[36:39], 0 idxen       // 0000000087D0: E07C2000 80093405
	v_add_u32_e32 v5, s46, v5                                  // 0000000087D8: 680A0A2E
	buffer_store_dwordx4 v[56:59], v5, s[36:39], 0 idxen       // 0000000087DC: E07C2000 80093805
	v_add_u32_e32 v5, s46, v5                                  // 0000000087E4: 680A0A2E
	buffer_store_dwordx4 v[60:63], v5, s[36:39], 0 idxen       // 0000000087E8: E07C2000 80093C05
	v_add_u32_e32 v5, s46, v5                                  // 0000000087F0: 680A0A2E
	s_mul_i32 s60, 12, s46                                     // 0000000087F4: 923C2E8C
	v_add_u32_e32 v5, s60, v5                                  // 0000000087F8: 680A0A3C
	s_barrier                                                  // 0000000087FC: BF8A0000
	s_cmp_ge_i32 1, s73                                        // 000000008800: BF034981
	s_cbranch_scc1 label_160A                                  // 000000008804: BF850388
	v_accvgpr_read_b32 v30, a192                               // 000000008808: D3D8401E 180001C0
	v_accvgpr_read_b32 v31, a193                               // 000000008810: D3D8401F 180001C1
	v_mul_f32_e32 v30, s48, v30                                // 000000008818: 0A3C3C30
	v_mul_f32_e32 v31, s48, v31                                // 00000000881C: 0A3E3E30
	v_cmp_u_f32_e64 s[74:75], v30, v30                         // 000000008820: D048004A 00023D1E
	v_bfe_u32 v248, v30, 16, 1                                 // 000000008828: D1C800F8 0205211E
	v_add3_u32 v248, v30, v248, v251                           // 000000008830: D1FF00F8 07EFF11E
	v_cndmask_b32_e64 v28, v248, v250, s[74:75]                // 000000008838: D100001C 012BF5F8
	v_lshrrev_b32_e32 v28, 16, v28                             // 000000008840: 20383890
	v_cmp_u_f32_e64 s[74:75], v31, v31                         // 000000008844: D048004A 00023F1F
	v_bfe_u32 v248, v31, 16, 1                                 // 00000000884C: D1C800F8 0205211F
	v_add3_u32 v248, v31, v248, v251                           // 000000008854: D1FF00F8 07EFF11F
	v_cndmask_b32_e64 v29, v248, v250, s[74:75]                // 00000000885C: D100001D 012BF5F8
	v_and_or_b32 v64, v29, v249, v28                           // 000000008864: D2010040 0473F31D
	v_accvgpr_read_b32 v30, a194                               // 00000000886C: D3D8401E 180001C2
	v_accvgpr_read_b32 v31, a195                               // 000000008874: D3D8401F 180001C3
	v_mul_f32_e32 v30, s48, v30                                // 00000000887C: 0A3C3C30
	v_mul_f32_e32 v31, s48, v31                                // 000000008880: 0A3E3E30
	v_cmp_u_f32_e64 s[74:75], v30, v30                         // 000000008884: D048004A 00023D1E
	v_bfe_u32 v248, v30, 16, 1                                 // 00000000888C: D1C800F8 0205211E
	v_add3_u32 v248, v30, v248, v251                           // 000000008894: D1FF00F8 07EFF11E
	v_cndmask_b32_e64 v28, v248, v250, s[74:75]                // 00000000889C: D100001C 012BF5F8
	v_lshrrev_b32_e32 v28, 16, v28                             // 0000000088A4: 20383890
	v_cmp_u_f32_e64 s[74:75], v31, v31                         // 0000000088A8: D048004A 00023F1F
	v_bfe_u32 v248, v31, 16, 1                                 // 0000000088B0: D1C800F8 0205211F
	v_add3_u32 v248, v31, v248, v251                           // 0000000088B8: D1FF00F8 07EFF11F
	v_cndmask_b32_e64 v29, v248, v250, s[74:75]                // 0000000088C0: D100001D 012BF5F8
	v_and_or_b32 v65, v29, v249, v28                           // 0000000088C8: D2010041 0473F31D
	v_accvgpr_read_b32 v30, a196                               // 0000000088D0: D3D8401E 180001C4
	v_accvgpr_read_b32 v31, a197                               // 0000000088D8: D3D8401F 180001C5
	v_mul_f32_e32 v30, s48, v30                                // 0000000088E0: 0A3C3C30
	v_mul_f32_e32 v31, s48, v31                                // 0000000088E4: 0A3E3E30
	v_cmp_u_f32_e64 s[74:75], v30, v30                         // 0000000088E8: D048004A 00023D1E
	v_bfe_u32 v248, v30, 16, 1                                 // 0000000088F0: D1C800F8 0205211E
	v_add3_u32 v248, v30, v248, v251                           // 0000000088F8: D1FF00F8 07EFF11E
	v_cndmask_b32_e64 v28, v248, v250, s[74:75]                // 000000008900: D100001C 012BF5F8
	v_lshrrev_b32_e32 v28, 16, v28                             // 000000008908: 20383890
	v_cmp_u_f32_e64 s[74:75], v31, v31                         // 00000000890C: D048004A 00023F1F
	v_bfe_u32 v248, v31, 16, 1                                 // 000000008914: D1C800F8 0205211F
	v_add3_u32 v248, v31, v248, v251                           // 00000000891C: D1FF00F8 07EFF11F
	v_cndmask_b32_e64 v29, v248, v250, s[74:75]                // 000000008924: D100001D 012BF5F8
	v_and_or_b32 v66, v29, v249, v28                           // 00000000892C: D2010042 0473F31D
	v_accvgpr_read_b32 v30, a198                               // 000000008934: D3D8401E 180001C6
	v_accvgpr_read_b32 v31, a199                               // 00000000893C: D3D8401F 180001C7
	v_mul_f32_e32 v30, s48, v30                                // 000000008944: 0A3C3C30
	v_mul_f32_e32 v31, s48, v31                                // 000000008948: 0A3E3E30
	v_cmp_u_f32_e64 s[74:75], v30, v30                         // 00000000894C: D048004A 00023D1E
	v_bfe_u32 v248, v30, 16, 1                                 // 000000008954: D1C800F8 0205211E
	v_add3_u32 v248, v30, v248, v251                           // 00000000895C: D1FF00F8 07EFF11E
	v_cndmask_b32_e64 v28, v248, v250, s[74:75]                // 000000008964: D100001C 012BF5F8
	v_lshrrev_b32_e32 v28, 16, v28                             // 00000000896C: 20383890
	v_cmp_u_f32_e64 s[74:75], v31, v31                         // 000000008970: D048004A 00023F1F
	v_bfe_u32 v248, v31, 16, 1                                 // 000000008978: D1C800F8 0205211F
	v_add3_u32 v248, v31, v248, v251                           // 000000008980: D1FF00F8 07EFF11F
	v_cndmask_b32_e64 v29, v248, v250, s[74:75]                // 000000008988: D100001D 012BF5F8
	v_and_or_b32 v67, v29, v249, v28                           // 000000008990: D2010043 0473F31D
	v_accvgpr_read_b32 v30, a200                               // 000000008998: D3D8401E 180001C8
	v_accvgpr_read_b32 v31, a201                               // 0000000089A0: D3D8401F 180001C9
	v_mul_f32_e32 v30, s48, v30                                // 0000000089A8: 0A3C3C30
	v_mul_f32_e32 v31, s48, v31                                // 0000000089AC: 0A3E3E30
	v_cmp_u_f32_e64 s[74:75], v30, v30                         // 0000000089B0: D048004A 00023D1E
	v_bfe_u32 v248, v30, 16, 1                                 // 0000000089B8: D1C800F8 0205211E
	v_add3_u32 v248, v30, v248, v251                           // 0000000089C0: D1FF00F8 07EFF11E
	v_cndmask_b32_e64 v28, v248, v250, s[74:75]                // 0000000089C8: D100001C 012BF5F8
	v_lshrrev_b32_e32 v28, 16, v28                             // 0000000089D0: 20383890
	v_cmp_u_f32_e64 s[74:75], v31, v31                         // 0000000089D4: D048004A 00023F1F
	v_bfe_u32 v248, v31, 16, 1                                 // 0000000089DC: D1C800F8 0205211F
	v_add3_u32 v248, v31, v248, v251                           // 0000000089E4: D1FF00F8 07EFF11F
	v_cndmask_b32_e64 v29, v248, v250, s[74:75]                // 0000000089EC: D100001D 012BF5F8
	v_and_or_b32 v68, v29, v249, v28                           // 0000000089F4: D2010044 0473F31D
	v_accvgpr_read_b32 v30, a202                               // 0000000089FC: D3D8401E 180001CA
	v_accvgpr_read_b32 v31, a203                               // 000000008A04: D3D8401F 180001CB
	v_mul_f32_e32 v30, s48, v30                                // 000000008A0C: 0A3C3C30
	v_mul_f32_e32 v31, s48, v31                                // 000000008A10: 0A3E3E30
	v_cmp_u_f32_e64 s[74:75], v30, v30                         // 000000008A14: D048004A 00023D1E
	v_bfe_u32 v248, v30, 16, 1                                 // 000000008A1C: D1C800F8 0205211E
	v_add3_u32 v248, v30, v248, v251                           // 000000008A24: D1FF00F8 07EFF11E
	v_cndmask_b32_e64 v28, v248, v250, s[74:75]                // 000000008A2C: D100001C 012BF5F8
	v_lshrrev_b32_e32 v28, 16, v28                             // 000000008A34: 20383890
	v_cmp_u_f32_e64 s[74:75], v31, v31                         // 000000008A38: D048004A 00023F1F
	v_bfe_u32 v248, v31, 16, 1                                 // 000000008A40: D1C800F8 0205211F
	v_add3_u32 v248, v31, v248, v251                           // 000000008A48: D1FF00F8 07EFF11F
	v_cndmask_b32_e64 v29, v248, v250, s[74:75]                // 000000008A50: D100001D 012BF5F8
	v_and_or_b32 v69, v29, v249, v28                           // 000000008A58: D2010045 0473F31D
	v_accvgpr_read_b32 v30, a204                               // 000000008A60: D3D8401E 180001CC
	v_accvgpr_read_b32 v31, a205                               // 000000008A68: D3D8401F 180001CD
	v_mul_f32_e32 v30, s48, v30                                // 000000008A70: 0A3C3C30
	v_mul_f32_e32 v31, s48, v31                                // 000000008A74: 0A3E3E30
	v_cmp_u_f32_e64 s[74:75], v30, v30                         // 000000008A78: D048004A 00023D1E
	v_bfe_u32 v248, v30, 16, 1                                 // 000000008A80: D1C800F8 0205211E
	v_add3_u32 v248, v30, v248, v251                           // 000000008A88: D1FF00F8 07EFF11E
	v_cndmask_b32_e64 v28, v248, v250, s[74:75]                // 000000008A90: D100001C 012BF5F8
	v_lshrrev_b32_e32 v28, 16, v28                             // 000000008A98: 20383890
	v_cmp_u_f32_e64 s[74:75], v31, v31                         // 000000008A9C: D048004A 00023F1F
	v_bfe_u32 v248, v31, 16, 1                                 // 000000008AA4: D1C800F8 0205211F
	v_add3_u32 v248, v31, v248, v251                           // 000000008AAC: D1FF00F8 07EFF11F
	v_cndmask_b32_e64 v29, v248, v250, s[74:75]                // 000000008AB4: D100001D 012BF5F8
	v_and_or_b32 v70, v29, v249, v28                           // 000000008ABC: D2010046 0473F31D
	v_accvgpr_read_b32 v30, a206                               // 000000008AC4: D3D8401E 180001CE
	v_accvgpr_read_b32 v31, a207                               // 000000008ACC: D3D8401F 180001CF
	v_mul_f32_e32 v30, s48, v30                                // 000000008AD4: 0A3C3C30
	v_mul_f32_e32 v31, s48, v31                                // 000000008AD8: 0A3E3E30
	v_cmp_u_f32_e64 s[74:75], v30, v30                         // 000000008ADC: D048004A 00023D1E
	v_bfe_u32 v248, v30, 16, 1                                 // 000000008AE4: D1C800F8 0205211E
	v_add3_u32 v248, v30, v248, v251                           // 000000008AEC: D1FF00F8 07EFF11E
	v_cndmask_b32_e64 v28, v248, v250, s[74:75]                // 000000008AF4: D100001C 012BF5F8
	v_lshrrev_b32_e32 v28, 16, v28                             // 000000008AFC: 20383890
	v_cmp_u_f32_e64 s[74:75], v31, v31                         // 000000008B00: D048004A 00023F1F
	v_bfe_u32 v248, v31, 16, 1                                 // 000000008B08: D1C800F8 0205211F
	v_add3_u32 v248, v31, v248, v251                           // 000000008B10: D1FF00F8 07EFF11F
	v_cndmask_b32_e64 v29, v248, v250, s[74:75]                // 000000008B18: D100001D 012BF5F8
	v_and_or_b32 v71, v29, v249, v28                           // 000000008B20: D2010047 0473F31D
	v_accvgpr_read_b32 v30, a208                               // 000000008B28: D3D8401E 180001D0
	v_accvgpr_read_b32 v31, a209                               // 000000008B30: D3D8401F 180001D1
	v_mul_f32_e32 v30, s48, v30                                // 000000008B38: 0A3C3C30
	v_mul_f32_e32 v31, s48, v31                                // 000000008B3C: 0A3E3E30
	v_cmp_u_f32_e64 s[74:75], v30, v30                         // 000000008B40: D048004A 00023D1E
	v_bfe_u32 v248, v30, 16, 1                                 // 000000008B48: D1C800F8 0205211E
	v_add3_u32 v248, v30, v248, v251                           // 000000008B50: D1FF00F8 07EFF11E
	v_cndmask_b32_e64 v28, v248, v250, s[74:75]                // 000000008B58: D100001C 012BF5F8
	v_lshrrev_b32_e32 v28, 16, v28                             // 000000008B60: 20383890
	v_cmp_u_f32_e64 s[74:75], v31, v31                         // 000000008B64: D048004A 00023F1F
	v_bfe_u32 v248, v31, 16, 1                                 // 000000008B6C: D1C800F8 0205211F
	v_add3_u32 v248, v31, v248, v251                           // 000000008B74: D1FF00F8 07EFF11F
	v_cndmask_b32_e64 v29, v248, v250, s[74:75]                // 000000008B7C: D100001D 012BF5F8
	v_and_or_b32 v72, v29, v249, v28                           // 000000008B84: D2010048 0473F31D
	v_accvgpr_read_b32 v30, a210                               // 000000008B8C: D3D8401E 180001D2
	v_accvgpr_read_b32 v31, a211                               // 000000008B94: D3D8401F 180001D3
	v_mul_f32_e32 v30, s48, v30                                // 000000008B9C: 0A3C3C30
	v_mul_f32_e32 v31, s48, v31                                // 000000008BA0: 0A3E3E30
	v_cmp_u_f32_e64 s[74:75], v30, v30                         // 000000008BA4: D048004A 00023D1E
	v_bfe_u32 v248, v30, 16, 1                                 // 000000008BAC: D1C800F8 0205211E
	v_add3_u32 v248, v30, v248, v251                           // 000000008BB4: D1FF00F8 07EFF11E
	v_cndmask_b32_e64 v28, v248, v250, s[74:75]                // 000000008BBC: D100001C 012BF5F8
	v_lshrrev_b32_e32 v28, 16, v28                             // 000000008BC4: 20383890
	v_cmp_u_f32_e64 s[74:75], v31, v31                         // 000000008BC8: D048004A 00023F1F
	v_bfe_u32 v248, v31, 16, 1                                 // 000000008BD0: D1C800F8 0205211F
	v_add3_u32 v248, v31, v248, v251                           // 000000008BD8: D1FF00F8 07EFF11F
	v_cndmask_b32_e64 v29, v248, v250, s[74:75]                // 000000008BE0: D100001D 012BF5F8
	v_and_or_b32 v73, v29, v249, v28                           // 000000008BE8: D2010049 0473F31D
	v_accvgpr_read_b32 v30, a212                               // 000000008BF0: D3D8401E 180001D4
	v_accvgpr_read_b32 v31, a213                               // 000000008BF8: D3D8401F 180001D5
	v_mul_f32_e32 v30, s48, v30                                // 000000008C00: 0A3C3C30
	v_mul_f32_e32 v31, s48, v31                                // 000000008C04: 0A3E3E30
	v_cmp_u_f32_e64 s[74:75], v30, v30                         // 000000008C08: D048004A 00023D1E
	v_bfe_u32 v248, v30, 16, 1                                 // 000000008C10: D1C800F8 0205211E
	v_add3_u32 v248, v30, v248, v251                           // 000000008C18: D1FF00F8 07EFF11E
	v_cndmask_b32_e64 v28, v248, v250, s[74:75]                // 000000008C20: D100001C 012BF5F8
	v_lshrrev_b32_e32 v28, 16, v28                             // 000000008C28: 20383890
	v_cmp_u_f32_e64 s[74:75], v31, v31                         // 000000008C2C: D048004A 00023F1F
	v_bfe_u32 v248, v31, 16, 1                                 // 000000008C34: D1C800F8 0205211F
	v_add3_u32 v248, v31, v248, v251                           // 000000008C3C: D1FF00F8 07EFF11F
	v_cndmask_b32_e64 v29, v248, v250, s[74:75]                // 000000008C44: D100001D 012BF5F8
	v_and_or_b32 v74, v29, v249, v28                           // 000000008C4C: D201004A 0473F31D
	v_accvgpr_read_b32 v30, a214                               // 000000008C54: D3D8401E 180001D6
	v_accvgpr_read_b32 v31, a215                               // 000000008C5C: D3D8401F 180001D7
	v_mul_f32_e32 v30, s48, v30                                // 000000008C64: 0A3C3C30
	v_mul_f32_e32 v31, s48, v31                                // 000000008C68: 0A3E3E30
	v_cmp_u_f32_e64 s[74:75], v30, v30                         // 000000008C6C: D048004A 00023D1E
	v_bfe_u32 v248, v30, 16, 1                                 // 000000008C74: D1C800F8 0205211E
	v_add3_u32 v248, v30, v248, v251                           // 000000008C7C: D1FF00F8 07EFF11E
	v_cndmask_b32_e64 v28, v248, v250, s[74:75]                // 000000008C84: D100001C 012BF5F8
	v_lshrrev_b32_e32 v28, 16, v28                             // 000000008C8C: 20383890
	v_cmp_u_f32_e64 s[74:75], v31, v31                         // 000000008C90: D048004A 00023F1F
	v_bfe_u32 v248, v31, 16, 1                                 // 000000008C98: D1C800F8 0205211F
	v_add3_u32 v248, v31, v248, v251                           // 000000008CA0: D1FF00F8 07EFF11F
	v_cndmask_b32_e64 v29, v248, v250, s[74:75]                // 000000008CA8: D100001D 012BF5F8
	v_and_or_b32 v75, v29, v249, v28                           // 000000008CB0: D201004B 0473F31D
	v_accvgpr_read_b32 v30, a216                               // 000000008CB8: D3D8401E 180001D8
	v_accvgpr_read_b32 v31, a217                               // 000000008CC0: D3D8401F 180001D9
	v_mul_f32_e32 v30, s48, v30                                // 000000008CC8: 0A3C3C30
	v_mul_f32_e32 v31, s48, v31                                // 000000008CCC: 0A3E3E30
	v_cmp_u_f32_e64 s[74:75], v30, v30                         // 000000008CD0: D048004A 00023D1E
	v_bfe_u32 v248, v30, 16, 1                                 // 000000008CD8: D1C800F8 0205211E
	v_add3_u32 v248, v30, v248, v251                           // 000000008CE0: D1FF00F8 07EFF11E
	v_cndmask_b32_e64 v28, v248, v250, s[74:75]                // 000000008CE8: D100001C 012BF5F8
	v_lshrrev_b32_e32 v28, 16, v28                             // 000000008CF0: 20383890
	v_cmp_u_f32_e64 s[74:75], v31, v31                         // 000000008CF4: D048004A 00023F1F
	v_bfe_u32 v248, v31, 16, 1                                 // 000000008CFC: D1C800F8 0205211F
	v_add3_u32 v248, v31, v248, v251                           // 000000008D04: D1FF00F8 07EFF11F
	v_cndmask_b32_e64 v29, v248, v250, s[74:75]                // 000000008D0C: D100001D 012BF5F8
	v_and_or_b32 v76, v29, v249, v28                           // 000000008D14: D201004C 0473F31D
	v_accvgpr_read_b32 v30, a218                               // 000000008D1C: D3D8401E 180001DA
	v_accvgpr_read_b32 v31, a219                               // 000000008D24: D3D8401F 180001DB
	v_mul_f32_e32 v30, s48, v30                                // 000000008D2C: 0A3C3C30
	v_mul_f32_e32 v31, s48, v31                                // 000000008D30: 0A3E3E30
	v_cmp_u_f32_e64 s[74:75], v30, v30                         // 000000008D34: D048004A 00023D1E
	v_bfe_u32 v248, v30, 16, 1                                 // 000000008D3C: D1C800F8 0205211E
	v_add3_u32 v248, v30, v248, v251                           // 000000008D44: D1FF00F8 07EFF11E
	v_cndmask_b32_e64 v28, v248, v250, s[74:75]                // 000000008D4C: D100001C 012BF5F8
	v_lshrrev_b32_e32 v28, 16, v28                             // 000000008D54: 20383890
	v_cmp_u_f32_e64 s[74:75], v31, v31                         // 000000008D58: D048004A 00023F1F
	v_bfe_u32 v248, v31, 16, 1                                 // 000000008D60: D1C800F8 0205211F
	v_add3_u32 v248, v31, v248, v251                           // 000000008D68: D1FF00F8 07EFF11F
	v_cndmask_b32_e64 v29, v248, v250, s[74:75]                // 000000008D70: D100001D 012BF5F8
	v_and_or_b32 v77, v29, v249, v28                           // 000000008D78: D201004D 0473F31D
	v_accvgpr_read_b32 v30, a220                               // 000000008D80: D3D8401E 180001DC
	v_accvgpr_read_b32 v31, a221                               // 000000008D88: D3D8401F 180001DD
	v_mul_f32_e32 v30, s48, v30                                // 000000008D90: 0A3C3C30
	v_mul_f32_e32 v31, s48, v31                                // 000000008D94: 0A3E3E30
	v_cmp_u_f32_e64 s[74:75], v30, v30                         // 000000008D98: D048004A 00023D1E
	v_bfe_u32 v248, v30, 16, 1                                 // 000000008DA0: D1C800F8 0205211E
	v_add3_u32 v248, v30, v248, v251                           // 000000008DA8: D1FF00F8 07EFF11E
	v_cndmask_b32_e64 v28, v248, v250, s[74:75]                // 000000008DB0: D100001C 012BF5F8
	v_lshrrev_b32_e32 v28, 16, v28                             // 000000008DB8: 20383890
	v_cmp_u_f32_e64 s[74:75], v31, v31                         // 000000008DBC: D048004A 00023F1F
	v_bfe_u32 v248, v31, 16, 1                                 // 000000008DC4: D1C800F8 0205211F
	v_add3_u32 v248, v31, v248, v251                           // 000000008DCC: D1FF00F8 07EFF11F
	v_cndmask_b32_e64 v29, v248, v250, s[74:75]                // 000000008DD4: D100001D 012BF5F8
	v_and_or_b32 v78, v29, v249, v28                           // 000000008DDC: D201004E 0473F31D
	v_accvgpr_read_b32 v30, a222                               // 000000008DE4: D3D8401E 180001DE
	v_accvgpr_read_b32 v31, a223                               // 000000008DEC: D3D8401F 180001DF
	v_mul_f32_e32 v30, s48, v30                                // 000000008DF4: 0A3C3C30
	v_mul_f32_e32 v31, s48, v31                                // 000000008DF8: 0A3E3E30
	v_cmp_u_f32_e64 s[74:75], v30, v30                         // 000000008DFC: D048004A 00023D1E
	v_bfe_u32 v248, v30, 16, 1                                 // 000000008E04: D1C800F8 0205211E
	v_add3_u32 v248, v30, v248, v251                           // 000000008E0C: D1FF00F8 07EFF11E
	v_cndmask_b32_e64 v28, v248, v250, s[74:75]                // 000000008E14: D100001C 012BF5F8
	v_lshrrev_b32_e32 v28, 16, v28                             // 000000008E1C: 20383890
	v_cmp_u_f32_e64 s[74:75], v31, v31                         // 000000008E20: D048004A 00023F1F
	v_bfe_u32 v248, v31, 16, 1                                 // 000000008E28: D1C800F8 0205211F
	v_add3_u32 v248, v31, v248, v251                           // 000000008E30: D1FF00F8 07EFF11F
	v_cndmask_b32_e64 v29, v248, v250, s[74:75]                // 000000008E38: D100001D 012BF5F8
	v_and_or_b32 v79, v29, v249, v28                           // 000000008E40: D201004F 0473F31D
	ds_write_b64 v27, v[64:65] offset:16896                    // 000000008E48: D89A4200 0000401B
	ds_write_b64 v27, v[66:67] offset:17424                    // 000000008E50: D89A4410 0000421B
	ds_write_b64 v27, v[68:69] offset:17952                    // 000000008E58: D89A4620 0000441B
	ds_write_b64 v27, v[70:71] offset:18480                    // 000000008E60: D89A4830 0000461B
	ds_write_b64 v27, v[72:73] offset:19008                    // 000000008E68: D89A4A40 0000481B
	ds_write_b64 v27, v[74:75] offset:19536                    // 000000008E70: D89A4C50 00004A1B
	ds_write_b64 v27, v[76:77] offset:20064                    // 000000008E78: D89A4E60 00004C1B
	ds_write_b64 v27, v[78:79] offset:20592                    // 000000008E80: D89A5070 00004E1B
	s_waitcnt lgkmcnt(0)                                       // 000000008E88: BF8CC07F
	s_barrier                                                  // 000000008E8C: BF8A0000
	ds_read_b64 v[64:65], v26 offset:16896                     // 000000008E90: D8EC4200 4000001A
	ds_read_b64 v[66:67], v26 offset:17024                     // 000000008E98: D8EC4280 4200001A
	ds_read_b64 v[68:69], v26 offset:16928                     // 000000008EA0: D8EC4220 4400001A
	ds_read_b64 v[70:71], v26 offset:17056                     // 000000008EA8: D8EC42A0 4600001A
	ds_read_b64 v[72:73], v26 offset:16960                     // 000000008EB0: D8EC4240 4800001A
	ds_read_b64 v[74:75], v26 offset:17088                     // 000000008EB8: D8EC42C0 4A00001A
	ds_read_b64 v[76:77], v26 offset:16992                     // 000000008EC0: D8EC4260 4C00001A
	ds_read_b64 v[78:79], v26 offset:17120                     // 000000008EC8: D8EC42E0 4E00001A
	s_waitcnt lgkmcnt(0)                                       // 000000008ED0: BF8CC07F
	buffer_store_dwordx4 v[64:67], v5, s[36:39], 0 idxen       // 000000008ED4: E07C2000 80094005
	v_add_u32_e32 v5, s46, v5                                  // 000000008EDC: 680A0A2E
	buffer_store_dwordx4 v[68:71], v5, s[36:39], 0 idxen       // 000000008EE0: E07C2000 80094405
	v_add_u32_e32 v5, s46, v5                                  // 000000008EE8: 680A0A2E
	buffer_store_dwordx4 v[72:75], v5, s[36:39], 0 idxen       // 000000008EEC: E07C2000 80094805
	v_add_u32_e32 v5, s46, v5                                  // 000000008EF4: 680A0A2E
	buffer_store_dwordx4 v[76:79], v5, s[36:39], 0 idxen       // 000000008EF8: E07C2000 80094C05
	v_add_u32_e32 v5, s46, v5                                  // 000000008F00: 680A0A2E
	s_mul_i32 s60, 12, s46                                     // 000000008F04: 923C2E8C
	v_add_u32_e32 v5, s60, v5                                  // 000000008F08: 680A0A3C
	s_barrier                                                  // 000000008F0C: BF8A0000
	s_cmp_ge_i32 2, s73                                        // 000000008F10: BF034982
	s_cbranch_scc1 label_160A                                  // 000000008F14: BF8501C4
	v_accvgpr_read_b32 v30, a224                               // 000000008F18: D3D8401E 180001E0
	v_accvgpr_read_b32 v31, a225                               // 000000008F20: D3D8401F 180001E1
	v_mul_f32_e32 v30, s48, v30                                // 000000008F28: 0A3C3C30
	v_mul_f32_e32 v31, s48, v31                                // 000000008F2C: 0A3E3E30
	v_cmp_u_f32_e64 s[74:75], v30, v30                         // 000000008F30: D048004A 00023D1E
	v_bfe_u32 v248, v30, 16, 1                                 // 000000008F38: D1C800F8 0205211E
	v_add3_u32 v248, v30, v248, v251                           // 000000008F40: D1FF00F8 07EFF11E
	v_cndmask_b32_e64 v28, v248, v250, s[74:75]                // 000000008F48: D100001C 012BF5F8
	v_lshrrev_b32_e32 v28, 16, v28                             // 000000008F50: 20383890
	v_cmp_u_f32_e64 s[74:75], v31, v31                         // 000000008F54: D048004A 00023F1F
	v_bfe_u32 v248, v31, 16, 1                                 // 000000008F5C: D1C800F8 0205211F
	v_add3_u32 v248, v31, v248, v251                           // 000000008F64: D1FF00F8 07EFF11F
	v_cndmask_b32_e64 v29, v248, v250, s[74:75]                // 000000008F6C: D100001D 012BF5F8
	v_and_or_b32 v80, v29, v249, v28                           // 000000008F74: D2010050 0473F31D
	v_accvgpr_read_b32 v30, a226                               // 000000008F7C: D3D8401E 180001E2
	v_accvgpr_read_b32 v31, a227                               // 000000008F84: D3D8401F 180001E3
	v_mul_f32_e32 v30, s48, v30                                // 000000008F8C: 0A3C3C30
	v_mul_f32_e32 v31, s48, v31                                // 000000008F90: 0A3E3E30
	v_cmp_u_f32_e64 s[74:75], v30, v30                         // 000000008F94: D048004A 00023D1E
	v_bfe_u32 v248, v30, 16, 1                                 // 000000008F9C: D1C800F8 0205211E
	v_add3_u32 v248, v30, v248, v251                           // 000000008FA4: D1FF00F8 07EFF11E
	v_cndmask_b32_e64 v28, v248, v250, s[74:75]                // 000000008FAC: D100001C 012BF5F8
	v_lshrrev_b32_e32 v28, 16, v28                             // 000000008FB4: 20383890
	v_cmp_u_f32_e64 s[74:75], v31, v31                         // 000000008FB8: D048004A 00023F1F
	v_bfe_u32 v248, v31, 16, 1                                 // 000000008FC0: D1C800F8 0205211F
	v_add3_u32 v248, v31, v248, v251                           // 000000008FC8: D1FF00F8 07EFF11F
	v_cndmask_b32_e64 v29, v248, v250, s[74:75]                // 000000008FD0: D100001D 012BF5F8
	v_and_or_b32 v81, v29, v249, v28                           // 000000008FD8: D2010051 0473F31D
	v_accvgpr_read_b32 v30, a228                               // 000000008FE0: D3D8401E 180001E4
	v_accvgpr_read_b32 v31, a229                               // 000000008FE8: D3D8401F 180001E5
	v_mul_f32_e32 v30, s48, v30                                // 000000008FF0: 0A3C3C30
	v_mul_f32_e32 v31, s48, v31                                // 000000008FF4: 0A3E3E30
	v_cmp_u_f32_e64 s[74:75], v30, v30                         // 000000008FF8: D048004A 00023D1E
	v_bfe_u32 v248, v30, 16, 1                                 // 000000009000: D1C800F8 0205211E
	v_add3_u32 v248, v30, v248, v251                           // 000000009008: D1FF00F8 07EFF11E
	v_cndmask_b32_e64 v28, v248, v250, s[74:75]                // 000000009010: D100001C 012BF5F8
	v_lshrrev_b32_e32 v28, 16, v28                             // 000000009018: 20383890
	v_cmp_u_f32_e64 s[74:75], v31, v31                         // 00000000901C: D048004A 00023F1F
	v_bfe_u32 v248, v31, 16, 1                                 // 000000009024: D1C800F8 0205211F
	v_add3_u32 v248, v31, v248, v251                           // 00000000902C: D1FF00F8 07EFF11F
	v_cndmask_b32_e64 v29, v248, v250, s[74:75]                // 000000009034: D100001D 012BF5F8
	v_and_or_b32 v82, v29, v249, v28                           // 00000000903C: D2010052 0473F31D
	v_accvgpr_read_b32 v30, a230                               // 000000009044: D3D8401E 180001E6
	v_accvgpr_read_b32 v31, a231                               // 00000000904C: D3D8401F 180001E7
	v_mul_f32_e32 v30, s48, v30                                // 000000009054: 0A3C3C30
	v_mul_f32_e32 v31, s48, v31                                // 000000009058: 0A3E3E30
	v_cmp_u_f32_e64 s[74:75], v30, v30                         // 00000000905C: D048004A 00023D1E
	v_bfe_u32 v248, v30, 16, 1                                 // 000000009064: D1C800F8 0205211E
	v_add3_u32 v248, v30, v248, v251                           // 00000000906C: D1FF00F8 07EFF11E
	v_cndmask_b32_e64 v28, v248, v250, s[74:75]                // 000000009074: D100001C 012BF5F8
	v_lshrrev_b32_e32 v28, 16, v28                             // 00000000907C: 20383890
	v_cmp_u_f32_e64 s[74:75], v31, v31                         // 000000009080: D048004A 00023F1F
	v_bfe_u32 v248, v31, 16, 1                                 // 000000009088: D1C800F8 0205211F
	v_add3_u32 v248, v31, v248, v251                           // 000000009090: D1FF00F8 07EFF11F
	v_cndmask_b32_e64 v29, v248, v250, s[74:75]                // 000000009098: D100001D 012BF5F8
	v_and_or_b32 v83, v29, v249, v28                           // 0000000090A0: D2010053 0473F31D
	v_accvgpr_read_b32 v30, a232                               // 0000000090A8: D3D8401E 180001E8
	v_accvgpr_read_b32 v31, a233                               // 0000000090B0: D3D8401F 180001E9
	v_mul_f32_e32 v30, s48, v30                                // 0000000090B8: 0A3C3C30
	v_mul_f32_e32 v31, s48, v31                                // 0000000090BC: 0A3E3E30
	v_cmp_u_f32_e64 s[74:75], v30, v30                         // 0000000090C0: D048004A 00023D1E
	v_bfe_u32 v248, v30, 16, 1                                 // 0000000090C8: D1C800F8 0205211E
	v_add3_u32 v248, v30, v248, v251                           // 0000000090D0: D1FF00F8 07EFF11E
	v_cndmask_b32_e64 v28, v248, v250, s[74:75]                // 0000000090D8: D100001C 012BF5F8
	v_lshrrev_b32_e32 v28, 16, v28                             // 0000000090E0: 20383890
	v_cmp_u_f32_e64 s[74:75], v31, v31                         // 0000000090E4: D048004A 00023F1F
	v_bfe_u32 v248, v31, 16, 1                                 // 0000000090EC: D1C800F8 0205211F
	v_add3_u32 v248, v31, v248, v251                           // 0000000090F4: D1FF00F8 07EFF11F
	v_cndmask_b32_e64 v29, v248, v250, s[74:75]                // 0000000090FC: D100001D 012BF5F8
	v_and_or_b32 v84, v29, v249, v28                           // 000000009104: D2010054 0473F31D
	v_accvgpr_read_b32 v30, a234                               // 00000000910C: D3D8401E 180001EA
	v_accvgpr_read_b32 v31, a235                               // 000000009114: D3D8401F 180001EB
	v_mul_f32_e32 v30, s48, v30                                // 00000000911C: 0A3C3C30
	v_mul_f32_e32 v31, s48, v31                                // 000000009120: 0A3E3E30
	v_cmp_u_f32_e64 s[74:75], v30, v30                         // 000000009124: D048004A 00023D1E
	v_bfe_u32 v248, v30, 16, 1                                 // 00000000912C: D1C800F8 0205211E
	v_add3_u32 v248, v30, v248, v251                           // 000000009134: D1FF00F8 07EFF11E
	v_cndmask_b32_e64 v28, v248, v250, s[74:75]                // 00000000913C: D100001C 012BF5F8
	v_lshrrev_b32_e32 v28, 16, v28                             // 000000009144: 20383890
	v_cmp_u_f32_e64 s[74:75], v31, v31                         // 000000009148: D048004A 00023F1F
	v_bfe_u32 v248, v31, 16, 1                                 // 000000009150: D1C800F8 0205211F
	v_add3_u32 v248, v31, v248, v251                           // 000000009158: D1FF00F8 07EFF11F
	v_cndmask_b32_e64 v29, v248, v250, s[74:75]                // 000000009160: D100001D 012BF5F8
	v_and_or_b32 v85, v29, v249, v28                           // 000000009168: D2010055 0473F31D
	v_accvgpr_read_b32 v30, a236                               // 000000009170: D3D8401E 180001EC
	v_accvgpr_read_b32 v31, a237                               // 000000009178: D3D8401F 180001ED
	v_mul_f32_e32 v30, s48, v30                                // 000000009180: 0A3C3C30
	v_mul_f32_e32 v31, s48, v31                                // 000000009184: 0A3E3E30
	v_cmp_u_f32_e64 s[74:75], v30, v30                         // 000000009188: D048004A 00023D1E
	v_bfe_u32 v248, v30, 16, 1                                 // 000000009190: D1C800F8 0205211E
	v_add3_u32 v248, v30, v248, v251                           // 000000009198: D1FF00F8 07EFF11E
	v_cndmask_b32_e64 v28, v248, v250, s[74:75]                // 0000000091A0: D100001C 012BF5F8
	v_lshrrev_b32_e32 v28, 16, v28                             // 0000000091A8: 20383890
	v_cmp_u_f32_e64 s[74:75], v31, v31                         // 0000000091AC: D048004A 00023F1F
	v_bfe_u32 v248, v31, 16, 1                                 // 0000000091B4: D1C800F8 0205211F
	v_add3_u32 v248, v31, v248, v251                           // 0000000091BC: D1FF00F8 07EFF11F
	v_cndmask_b32_e64 v29, v248, v250, s[74:75]                // 0000000091C4: D100001D 012BF5F8
	v_and_or_b32 v86, v29, v249, v28                           // 0000000091CC: D2010056 0473F31D
	v_accvgpr_read_b32 v30, a238                               // 0000000091D4: D3D8401E 180001EE
	v_accvgpr_read_b32 v31, a239                               // 0000000091DC: D3D8401F 180001EF
	v_mul_f32_e32 v30, s48, v30                                // 0000000091E4: 0A3C3C30
	v_mul_f32_e32 v31, s48, v31                                // 0000000091E8: 0A3E3E30
	v_cmp_u_f32_e64 s[74:75], v30, v30                         // 0000000091EC: D048004A 00023D1E
	v_bfe_u32 v248, v30, 16, 1                                 // 0000000091F4: D1C800F8 0205211E
	v_add3_u32 v248, v30, v248, v251                           // 0000000091FC: D1FF00F8 07EFF11E
	v_cndmask_b32_e64 v28, v248, v250, s[74:75]                // 000000009204: D100001C 012BF5F8
	v_lshrrev_b32_e32 v28, 16, v28                             // 00000000920C: 20383890
	v_cmp_u_f32_e64 s[74:75], v31, v31                         // 000000009210: D048004A 00023F1F
	v_bfe_u32 v248, v31, 16, 1                                 // 000000009218: D1C800F8 0205211F
	v_add3_u32 v248, v31, v248, v251                           // 000000009220: D1FF00F8 07EFF11F
	v_cndmask_b32_e64 v29, v248, v250, s[74:75]                // 000000009228: D100001D 012BF5F8
	v_and_or_b32 v87, v29, v249, v28                           // 000000009230: D2010057 0473F31D
	v_accvgpr_read_b32 v30, a240                               // 000000009238: D3D8401E 180001F0
	v_accvgpr_read_b32 v31, a241                               // 000000009240: D3D8401F 180001F1
	v_mul_f32_e32 v30, s48, v30                                // 000000009248: 0A3C3C30
	v_mul_f32_e32 v31, s48, v31                                // 00000000924C: 0A3E3E30
	v_cmp_u_f32_e64 s[74:75], v30, v30                         // 000000009250: D048004A 00023D1E
	v_bfe_u32 v248, v30, 16, 1                                 // 000000009258: D1C800F8 0205211E
	v_add3_u32 v248, v30, v248, v251                           // 000000009260: D1FF00F8 07EFF11E
	v_cndmask_b32_e64 v28, v248, v250, s[74:75]                // 000000009268: D100001C 012BF5F8
	v_lshrrev_b32_e32 v28, 16, v28                             // 000000009270: 20383890
	v_cmp_u_f32_e64 s[74:75], v31, v31                         // 000000009274: D048004A 00023F1F
	v_bfe_u32 v248, v31, 16, 1                                 // 00000000927C: D1C800F8 0205211F
	v_add3_u32 v248, v31, v248, v251                           // 000000009284: D1FF00F8 07EFF11F
	v_cndmask_b32_e64 v29, v248, v250, s[74:75]                // 00000000928C: D100001D 012BF5F8
	v_and_or_b32 v88, v29, v249, v28                           // 000000009294: D2010058 0473F31D
	v_accvgpr_read_b32 v30, a242                               // 00000000929C: D3D8401E 180001F2
	v_accvgpr_read_b32 v31, a243                               // 0000000092A4: D3D8401F 180001F3
	v_mul_f32_e32 v30, s48, v30                                // 0000000092AC: 0A3C3C30
	v_mul_f32_e32 v31, s48, v31                                // 0000000092B0: 0A3E3E30
	v_cmp_u_f32_e64 s[74:75], v30, v30                         // 0000000092B4: D048004A 00023D1E
	v_bfe_u32 v248, v30, 16, 1                                 // 0000000092BC: D1C800F8 0205211E
	v_add3_u32 v248, v30, v248, v251                           // 0000000092C4: D1FF00F8 07EFF11E
	v_cndmask_b32_e64 v28, v248, v250, s[74:75]                // 0000000092CC: D100001C 012BF5F8
	v_lshrrev_b32_e32 v28, 16, v28                             // 0000000092D4: 20383890
	v_cmp_u_f32_e64 s[74:75], v31, v31                         // 0000000092D8: D048004A 00023F1F
	v_bfe_u32 v248, v31, 16, 1                                 // 0000000092E0: D1C800F8 0205211F
	v_add3_u32 v248, v31, v248, v251                           // 0000000092E8: D1FF00F8 07EFF11F
	v_cndmask_b32_e64 v29, v248, v250, s[74:75]                // 0000000092F0: D100001D 012BF5F8
	v_and_or_b32 v89, v29, v249, v28                           // 0000000092F8: D2010059 0473F31D
	v_accvgpr_read_b32 v30, a244                               // 000000009300: D3D8401E 180001F4
	v_accvgpr_read_b32 v31, a245                               // 000000009308: D3D8401F 180001F5
	v_mul_f32_e32 v30, s48, v30                                // 000000009310: 0A3C3C30
	v_mul_f32_e32 v31, s48, v31                                // 000000009314: 0A3E3E30
	v_cmp_u_f32_e64 s[74:75], v30, v30                         // 000000009318: D048004A 00023D1E
	v_bfe_u32 v248, v30, 16, 1                                 // 000000009320: D1C800F8 0205211E
	v_add3_u32 v248, v30, v248, v251                           // 000000009328: D1FF00F8 07EFF11E
	v_cndmask_b32_e64 v28, v248, v250, s[74:75]                // 000000009330: D100001C 012BF5F8
	v_lshrrev_b32_e32 v28, 16, v28                             // 000000009338: 20383890
	v_cmp_u_f32_e64 s[74:75], v31, v31                         // 00000000933C: D048004A 00023F1F
	v_bfe_u32 v248, v31, 16, 1                                 // 000000009344: D1C800F8 0205211F
	v_add3_u32 v248, v31, v248, v251                           // 00000000934C: D1FF00F8 07EFF11F
	v_cndmask_b32_e64 v29, v248, v250, s[74:75]                // 000000009354: D100001D 012BF5F8
	v_and_or_b32 v90, v29, v249, v28                           // 00000000935C: D201005A 0473F31D
	v_accvgpr_read_b32 v30, a246                               // 000000009364: D3D8401E 180001F6
	v_accvgpr_read_b32 v31, a247                               // 00000000936C: D3D8401F 180001F7
	v_mul_f32_e32 v30, s48, v30                                // 000000009374: 0A3C3C30
	v_mul_f32_e32 v31, s48, v31                                // 000000009378: 0A3E3E30
	v_cmp_u_f32_e64 s[74:75], v30, v30                         // 00000000937C: D048004A 00023D1E
	v_bfe_u32 v248, v30, 16, 1                                 // 000000009384: D1C800F8 0205211E
	v_add3_u32 v248, v30, v248, v251                           // 00000000938C: D1FF00F8 07EFF11E
	v_cndmask_b32_e64 v28, v248, v250, s[74:75]                // 000000009394: D100001C 012BF5F8
	v_lshrrev_b32_e32 v28, 16, v28                             // 00000000939C: 20383890
	v_cmp_u_f32_e64 s[74:75], v31, v31                         // 0000000093A0: D048004A 00023F1F
	v_bfe_u32 v248, v31, 16, 1                                 // 0000000093A8: D1C800F8 0205211F
	v_add3_u32 v248, v31, v248, v251                           // 0000000093B0: D1FF00F8 07EFF11F
	v_cndmask_b32_e64 v29, v248, v250, s[74:75]                // 0000000093B8: D100001D 012BF5F8
	v_and_or_b32 v91, v29, v249, v28                           // 0000000093C0: D201005B 0473F31D
	v_accvgpr_read_b32 v30, a248                               // 0000000093C8: D3D8401E 180001F8
	v_accvgpr_read_b32 v31, a249                               // 0000000093D0: D3D8401F 180001F9
	v_mul_f32_e32 v30, s48, v30                                // 0000000093D8: 0A3C3C30
	v_mul_f32_e32 v31, s48, v31                                // 0000000093DC: 0A3E3E30
	v_cmp_u_f32_e64 s[74:75], v30, v30                         // 0000000093E0: D048004A 00023D1E
	v_bfe_u32 v248, v30, 16, 1                                 // 0000000093E8: D1C800F8 0205211E
	v_add3_u32 v248, v30, v248, v251                           // 0000000093F0: D1FF00F8 07EFF11E
	v_cndmask_b32_e64 v28, v248, v250, s[74:75]                // 0000000093F8: D100001C 012BF5F8
	v_lshrrev_b32_e32 v28, 16, v28                             // 000000009400: 20383890
	v_cmp_u_f32_e64 s[74:75], v31, v31                         // 000000009404: D048004A 00023F1F
	v_bfe_u32 v248, v31, 16, 1                                 // 00000000940C: D1C800F8 0205211F
	v_add3_u32 v248, v31, v248, v251                           // 000000009414: D1FF00F8 07EFF11F
	v_cndmask_b32_e64 v29, v248, v250, s[74:75]                // 00000000941C: D100001D 012BF5F8
	v_and_or_b32 v92, v29, v249, v28                           // 000000009424: D201005C 0473F31D
	v_accvgpr_read_b32 v30, a250                               // 00000000942C: D3D8401E 180001FA
	v_accvgpr_read_b32 v31, a251                               // 000000009434: D3D8401F 180001FB
	v_mul_f32_e32 v30, s48, v30                                // 00000000943C: 0A3C3C30
	v_mul_f32_e32 v31, s48, v31                                // 000000009440: 0A3E3E30
	v_cmp_u_f32_e64 s[74:75], v30, v30                         // 000000009444: D048004A 00023D1E
	v_bfe_u32 v248, v30, 16, 1                                 // 00000000944C: D1C800F8 0205211E
	v_add3_u32 v248, v30, v248, v251                           // 000000009454: D1FF00F8 07EFF11E
	v_cndmask_b32_e64 v28, v248, v250, s[74:75]                // 00000000945C: D100001C 012BF5F8
	v_lshrrev_b32_e32 v28, 16, v28                             // 000000009464: 20383890
	v_cmp_u_f32_e64 s[74:75], v31, v31                         // 000000009468: D048004A 00023F1F
	v_bfe_u32 v248, v31, 16, 1                                 // 000000009470: D1C800F8 0205211F
	v_add3_u32 v248, v31, v248, v251                           // 000000009478: D1FF00F8 07EFF11F
	v_cndmask_b32_e64 v29, v248, v250, s[74:75]                // 000000009480: D100001D 012BF5F8
	v_and_or_b32 v93, v29, v249, v28                           // 000000009488: D201005D 0473F31D
	v_accvgpr_read_b32 v30, a252                               // 000000009490: D3D8401E 180001FC
	v_accvgpr_read_b32 v31, a253                               // 000000009498: D3D8401F 180001FD
	v_mul_f32_e32 v30, s48, v30                                // 0000000094A0: 0A3C3C30
	v_mul_f32_e32 v31, s48, v31                                // 0000000094A4: 0A3E3E30
	v_cmp_u_f32_e64 s[74:75], v30, v30                         // 0000000094A8: D048004A 00023D1E
	v_bfe_u32 v248, v30, 16, 1                                 // 0000000094B0: D1C800F8 0205211E
	v_add3_u32 v248, v30, v248, v251                           // 0000000094B8: D1FF00F8 07EFF11E
	v_cndmask_b32_e64 v28, v248, v250, s[74:75]                // 0000000094C0: D100001C 012BF5F8
	v_lshrrev_b32_e32 v28, 16, v28                             // 0000000094C8: 20383890
	v_cmp_u_f32_e64 s[74:75], v31, v31                         // 0000000094CC: D048004A 00023F1F
	v_bfe_u32 v248, v31, 16, 1                                 // 0000000094D4: D1C800F8 0205211F
	v_add3_u32 v248, v31, v248, v251                           // 0000000094DC: D1FF00F8 07EFF11F
	v_cndmask_b32_e64 v29, v248, v250, s[74:75]                // 0000000094E4: D100001D 012BF5F8
	v_and_or_b32 v94, v29, v249, v28                           // 0000000094EC: D201005E 0473F31D
	v_accvgpr_read_b32 v30, a254                               // 0000000094F4: D3D8401E 180001FE
	v_accvgpr_read_b32 v31, a255                               // 0000000094FC: D3D8401F 180001FF
	v_mul_f32_e32 v30, s48, v30                                // 000000009504: 0A3C3C30
	v_mul_f32_e32 v31, s48, v31                                // 000000009508: 0A3E3E30
	v_cmp_u_f32_e64 s[74:75], v30, v30                         // 00000000950C: D048004A 00023D1E
	v_bfe_u32 v248, v30, 16, 1                                 // 000000009514: D1C800F8 0205211E
	v_add3_u32 v248, v30, v248, v251                           // 00000000951C: D1FF00F8 07EFF11E
	v_cndmask_b32_e64 v28, v248, v250, s[74:75]                // 000000009524: D100001C 012BF5F8
	v_lshrrev_b32_e32 v28, 16, v28                             // 00000000952C: 20383890
	v_cmp_u_f32_e64 s[74:75], v31, v31                         // 000000009530: D048004A 00023F1F
	v_bfe_u32 v248, v31, 16, 1                                 // 000000009538: D1C800F8 0205211F
	v_add3_u32 v248, v31, v248, v251                           // 000000009540: D1FF00F8 07EFF11F
	v_cndmask_b32_e64 v29, v248, v250, s[74:75]                // 000000009548: D100001D 012BF5F8
	v_and_or_b32 v95, v29, v249, v28                           // 000000009550: D201005F 0473F31D
	ds_write_b64 v27, v[80:81] offset:33792                    // 000000009558: D89A8400 0000501B
	ds_write_b64 v27, v[82:83] offset:34320                    // 000000009560: D89A8610 0000521B
	ds_write_b64 v27, v[84:85] offset:34848                    // 000000009568: D89A8820 0000541B
	ds_write_b64 v27, v[86:87] offset:35376                    // 000000009570: D89A8A30 0000561B
	ds_write_b64 v27, v[88:89] offset:35904                    // 000000009578: D89A8C40 0000581B
	ds_write_b64 v27, v[90:91] offset:36432                    // 000000009580: D89A8E50 00005A1B
	ds_write_b64 v27, v[92:93] offset:36960                    // 000000009588: D89A9060 00005C1B
	ds_write_b64 v27, v[94:95] offset:37488                    // 000000009590: D89A9270 00005E1B
	s_waitcnt lgkmcnt(0)                                       // 000000009598: BF8CC07F
	s_barrier                                                  // 00000000959C: BF8A0000
	ds_read_b64 v[80:81], v26 offset:33792                     // 0000000095A0: D8EC8400 5000001A
	ds_read_b64 v[82:83], v26 offset:33920                     // 0000000095A8: D8EC8480 5200001A
	ds_read_b64 v[84:85], v26 offset:33824                     // 0000000095B0: D8EC8420 5400001A
	ds_read_b64 v[86:87], v26 offset:33952                     // 0000000095B8: D8EC84A0 5600001A
	ds_read_b64 v[88:89], v26 offset:33856                     // 0000000095C0: D8EC8440 5800001A
	ds_read_b64 v[90:91], v26 offset:33984                     // 0000000095C8: D8EC84C0 5A00001A
	ds_read_b64 v[92:93], v26 offset:33888                     // 0000000095D0: D8EC8460 5C00001A
	ds_read_b64 v[94:95], v26 offset:34016                     // 0000000095D8: D8EC84E0 5E00001A
	s_waitcnt lgkmcnt(0)                                       // 0000000095E0: BF8CC07F
	buffer_store_dwordx4 v[80:83], v5, s[36:39], 0 idxen       // 0000000095E4: E07C2000 80095005
	v_add_u32_e32 v5, s46, v5                                  // 0000000095EC: 680A0A2E
	buffer_store_dwordx4 v[84:87], v5, s[36:39], 0 idxen       // 0000000095F0: E07C2000 80095405
	v_add_u32_e32 v5, s46, v5                                  // 0000000095F8: 680A0A2E
	buffer_store_dwordx4 v[88:91], v5, s[36:39], 0 idxen       // 0000000095FC: E07C2000 80095805
	v_add_u32_e32 v5, s46, v5                                  // 000000009604: 680A0A2E
	buffer_store_dwordx4 v[92:95], v5, s[36:39], 0 idxen       // 000000009608: E07C2000 80095C05
	v_add_u32_e32 v5, s46, v5                                  // 000000009610: 680A0A2E
	s_mul_i32 s60, 12, s46                                     // 000000009614: 923C2E8C
	v_add_u32_e32 v5, s60, v5                                  // 000000009618: 680A0A3C
	s_barrier                                                  // 00000000961C: BF8A0000
	s_cmp_ge_i32 3, s73                                        // 000000009620: BF034983
	s_cbranch_scc1 label_160A                                  // 000000009624: BF850000

0000000000009628 <label_160A>:
	v_mov_b32_e32 v30, v152                                    // 000000009628: 7E3C0398
	v_mov_b32_e32 v31, v153                                    // 00000000962C: 7E3E0399
	v_cmp_u_f32_e64 s[74:75], v30, v30                         // 000000009630: D048004A 00023D1E
	v_bfe_u32 v248, v30, 16, 1                                 // 000000009638: D1C800F8 0205211E
	v_add3_u32 v248, v30, v248, v251                           // 000000009640: D1FF00F8 07EFF11E
	v_cndmask_b32_e64 v28, v248, v250, s[74:75]                // 000000009648: D100001C 012BF5F8
	v_lshrrev_b32_e32 v28, 16, v28                             // 000000009650: 20383890
	v_cmp_u_f32_e64 s[74:75], v31, v31                         // 000000009654: D048004A 00023F1F
	v_bfe_u32 v248, v31, 16, 1                                 // 00000000965C: D1C800F8 0205211F
	v_add3_u32 v248, v31, v248, v251                           // 000000009664: D1FF00F8 07EFF11F
	v_cndmask_b32_e64 v29, v248, v250, s[74:75]                // 00000000966C: D100001D 012BF5F8
	v_and_or_b32 v152, v29, v249, v28                          // 000000009674: D2010098 0473F31D
	v_mov_b32_e32 v30, v154                                    // 00000000967C: 7E3C039A
	v_mov_b32_e32 v31, v155                                    // 000000009680: 7E3E039B
	v_cmp_u_f32_e64 s[74:75], v30, v30                         // 000000009684: D048004A 00023D1E
	v_bfe_u32 v248, v30, 16, 1                                 // 00000000968C: D1C800F8 0205211E
	v_add3_u32 v248, v30, v248, v251                           // 000000009694: D1FF00F8 07EFF11E
	v_cndmask_b32_e64 v28, v248, v250, s[74:75]                // 00000000969C: D100001C 012BF5F8
	v_lshrrev_b32_e32 v28, 16, v28                             // 0000000096A4: 20383890
	v_cmp_u_f32_e64 s[74:75], v31, v31                         // 0000000096A8: D048004A 00023F1F
	v_bfe_u32 v248, v31, 16, 1                                 // 0000000096B0: D1C800F8 0205211F
	v_add3_u32 v248, v31, v248, v251                           // 0000000096B8: D1FF00F8 07EFF11F
	v_cndmask_b32_e64 v29, v248, v250, s[74:75]                // 0000000096C0: D100001D 012BF5F8
	v_and_or_b32 v153, v29, v249, v28                          // 0000000096C8: D2010099 0473F31D
	v_mov_b32_e32 v30, v156                                    // 0000000096D0: 7E3C039C
	v_mov_b32_e32 v31, v157                                    // 0000000096D4: 7E3E039D
	v_cmp_u_f32_e64 s[74:75], v30, v30                         // 0000000096D8: D048004A 00023D1E
	v_bfe_u32 v248, v30, 16, 1                                 // 0000000096E0: D1C800F8 0205211E
	v_add3_u32 v248, v30, v248, v251                           // 0000000096E8: D1FF00F8 07EFF11E
	v_cndmask_b32_e64 v28, v248, v250, s[74:75]                // 0000000096F0: D100001C 012BF5F8
	v_lshrrev_b32_e32 v28, 16, v28                             // 0000000096F8: 20383890
	v_cmp_u_f32_e64 s[74:75], v31, v31                         // 0000000096FC: D048004A 00023F1F
	v_bfe_u32 v248, v31, 16, 1                                 // 000000009704: D1C800F8 0205211F
	v_add3_u32 v248, v31, v248, v251                           // 00000000970C: D1FF00F8 07EFF11F
	v_cndmask_b32_e64 v29, v248, v250, s[74:75]                // 000000009714: D100001D 012BF5F8
	v_and_or_b32 v154, v29, v249, v28                          // 00000000971C: D201009A 0473F31D
	v_mov_b32_e32 v30, v158                                    // 000000009724: 7E3C039E
	v_mov_b32_e32 v31, v159                                    // 000000009728: 7E3E039F
	v_cmp_u_f32_e64 s[74:75], v30, v30                         // 00000000972C: D048004A 00023D1E
	v_bfe_u32 v248, v30, 16, 1                                 // 000000009734: D1C800F8 0205211E
	v_add3_u32 v248, v30, v248, v251                           // 00000000973C: D1FF00F8 07EFF11E
	v_cndmask_b32_e64 v28, v248, v250, s[74:75]                // 000000009744: D100001C 012BF5F8
	v_lshrrev_b32_e32 v28, 16, v28                             // 00000000974C: 20383890
	v_cmp_u_f32_e64 s[74:75], v31, v31                         // 000000009750: D048004A 00023F1F
	v_bfe_u32 v248, v31, 16, 1                                 // 000000009758: D1C800F8 0205211F
	v_add3_u32 v248, v31, v248, v251                           // 000000009760: D1FF00F8 07EFF11F
	v_cndmask_b32_e64 v29, v248, v250, s[74:75]                // 000000009768: D100001D 012BF5F8
	v_and_or_b32 v155, v29, v249, v28                          // 000000009770: D201009B 0473F31D
	v_mov_b32_e32 v30, v160                                    // 000000009778: 7E3C03A0
	v_mov_b32_e32 v31, v161                                    // 00000000977C: 7E3E03A1
	v_cmp_u_f32_e64 s[74:75], v30, v30                         // 000000009780: D048004A 00023D1E
	v_bfe_u32 v248, v30, 16, 1                                 // 000000009788: D1C800F8 0205211E
	v_add3_u32 v248, v30, v248, v251                           // 000000009790: D1FF00F8 07EFF11E
	v_cndmask_b32_e64 v28, v248, v250, s[74:75]                // 000000009798: D100001C 012BF5F8
	v_lshrrev_b32_e32 v28, 16, v28                             // 0000000097A0: 20383890
	v_cmp_u_f32_e64 s[74:75], v31, v31                         // 0000000097A4: D048004A 00023F1F
	v_bfe_u32 v248, v31, 16, 1                                 // 0000000097AC: D1C800F8 0205211F
	v_add3_u32 v248, v31, v248, v251                           // 0000000097B4: D1FF00F8 07EFF11F
	v_cndmask_b32_e64 v29, v248, v250, s[74:75]                // 0000000097BC: D100001D 012BF5F8
	v_and_or_b32 v156, v29, v249, v28                          // 0000000097C4: D201009C 0473F31D
	v_mov_b32_e32 v30, v162                                    // 0000000097CC: 7E3C03A2
	v_mov_b32_e32 v31, v163                                    // 0000000097D0: 7E3E03A3
	v_cmp_u_f32_e64 s[74:75], v30, v30                         // 0000000097D4: D048004A 00023D1E
	v_bfe_u32 v248, v30, 16, 1                                 // 0000000097DC: D1C800F8 0205211E
	v_add3_u32 v248, v30, v248, v251                           // 0000000097E4: D1FF00F8 07EFF11E
	v_cndmask_b32_e64 v28, v248, v250, s[74:75]                // 0000000097EC: D100001C 012BF5F8
	v_lshrrev_b32_e32 v28, 16, v28                             // 0000000097F4: 20383890
	v_cmp_u_f32_e64 s[74:75], v31, v31                         // 0000000097F8: D048004A 00023F1F
	v_bfe_u32 v248, v31, 16, 1                                 // 000000009800: D1C800F8 0205211F
	v_add3_u32 v248, v31, v248, v251                           // 000000009808: D1FF00F8 07EFF11F
	v_cndmask_b32_e64 v29, v248, v250, s[74:75]                // 000000009810: D100001D 012BF5F8
	v_and_or_b32 v157, v29, v249, v28                          // 000000009818: D201009D 0473F31D
	v_mov_b32_e32 v30, v164                                    // 000000009820: 7E3C03A4
	v_mov_b32_e32 v31, v165                                    // 000000009824: 7E3E03A5
	v_cmp_u_f32_e64 s[74:75], v30, v30                         // 000000009828: D048004A 00023D1E
	v_bfe_u32 v248, v30, 16, 1                                 // 000000009830: D1C800F8 0205211E
	v_add3_u32 v248, v30, v248, v251                           // 000000009838: D1FF00F8 07EFF11E
	v_cndmask_b32_e64 v28, v248, v250, s[74:75]                // 000000009840: D100001C 012BF5F8
	v_lshrrev_b32_e32 v28, 16, v28                             // 000000009848: 20383890
	v_cmp_u_f32_e64 s[74:75], v31, v31                         // 00000000984C: D048004A 00023F1F
	v_bfe_u32 v248, v31, 16, 1                                 // 000000009854: D1C800F8 0205211F
	v_add3_u32 v248, v31, v248, v251                           // 00000000985C: D1FF00F8 07EFF11F
	v_cndmask_b32_e64 v29, v248, v250, s[74:75]                // 000000009864: D100001D 012BF5F8
	v_and_or_b32 v158, v29, v249, v28                          // 00000000986C: D201009E 0473F31D
	v_mov_b32_e32 v30, v166                                    // 000000009874: 7E3C03A6
	v_mov_b32_e32 v31, v167                                    // 000000009878: 7E3E03A7
	v_cmp_u_f32_e64 s[74:75], v30, v30                         // 00000000987C: D048004A 00023D1E
	v_bfe_u32 v248, v30, 16, 1                                 // 000000009884: D1C800F8 0205211E
	v_add3_u32 v248, v30, v248, v251                           // 00000000988C: D1FF00F8 07EFF11E
	v_cndmask_b32_e64 v28, v248, v250, s[74:75]                // 000000009894: D100001C 012BF5F8
	v_lshrrev_b32_e32 v28, 16, v28                             // 00000000989C: 20383890
	v_cmp_u_f32_e64 s[74:75], v31, v31                         // 0000000098A0: D048004A 00023F1F
	v_bfe_u32 v248, v31, 16, 1                                 // 0000000098A8: D1C800F8 0205211F
	v_add3_u32 v248, v31, v248, v251                           // 0000000098B0: D1FF00F8 07EFF11F
	v_cndmask_b32_e64 v29, v248, v250, s[74:75]                // 0000000098B8: D100001D 012BF5F8
	v_and_or_b32 v159, v29, v249, v28                          // 0000000098C0: D201009F 0473F31D
	v_mov_b32_e32 v30, v168                                    // 0000000098C8: 7E3C03A8
	v_mov_b32_e32 v31, v169                                    // 0000000098CC: 7E3E03A9
	v_cmp_u_f32_e64 s[74:75], v30, v30                         // 0000000098D0: D048004A 00023D1E
	v_bfe_u32 v248, v30, 16, 1                                 // 0000000098D8: D1C800F8 0205211E
	v_add3_u32 v248, v30, v248, v251                           // 0000000098E0: D1FF00F8 07EFF11E
	v_cndmask_b32_e64 v28, v248, v250, s[74:75]                // 0000000098E8: D100001C 012BF5F8
	v_lshrrev_b32_e32 v28, 16, v28                             // 0000000098F0: 20383890
	v_cmp_u_f32_e64 s[74:75], v31, v31                         // 0000000098F4: D048004A 00023F1F
	v_bfe_u32 v248, v31, 16, 1                                 // 0000000098FC: D1C800F8 0205211F
	v_add3_u32 v248, v31, v248, v251                           // 000000009904: D1FF00F8 07EFF11F
	v_cndmask_b32_e64 v29, v248, v250, s[74:75]                // 00000000990C: D100001D 012BF5F8
	v_and_or_b32 v160, v29, v249, v28                          // 000000009914: D20100A0 0473F31D
	v_mov_b32_e32 v30, v170                                    // 00000000991C: 7E3C03AA
	v_mov_b32_e32 v31, v171                                    // 000000009920: 7E3E03AB
	v_cmp_u_f32_e64 s[74:75], v30, v30                         // 000000009924: D048004A 00023D1E
	v_bfe_u32 v248, v30, 16, 1                                 // 00000000992C: D1C800F8 0205211E
	v_add3_u32 v248, v30, v248, v251                           // 000000009934: D1FF00F8 07EFF11E
	v_cndmask_b32_e64 v28, v248, v250, s[74:75]                // 00000000993C: D100001C 012BF5F8
	v_lshrrev_b32_e32 v28, 16, v28                             // 000000009944: 20383890
	v_cmp_u_f32_e64 s[74:75], v31, v31                         // 000000009948: D048004A 00023F1F
	v_bfe_u32 v248, v31, 16, 1                                 // 000000009950: D1C800F8 0205211F
	v_add3_u32 v248, v31, v248, v251                           // 000000009958: D1FF00F8 07EFF11F
	v_cndmask_b32_e64 v29, v248, v250, s[74:75]                // 000000009960: D100001D 012BF5F8
	v_and_or_b32 v161, v29, v249, v28                          // 000000009968: D20100A1 0473F31D
	v_mov_b32_e32 v30, v172                                    // 000000009970: 7E3C03AC
	v_mov_b32_e32 v31, v173                                    // 000000009974: 7E3E03AD
	v_cmp_u_f32_e64 s[74:75], v30, v30                         // 000000009978: D048004A 00023D1E
	v_bfe_u32 v248, v30, 16, 1                                 // 000000009980: D1C800F8 0205211E
	v_add3_u32 v248, v30, v248, v251                           // 000000009988: D1FF00F8 07EFF11E
	v_cndmask_b32_e64 v28, v248, v250, s[74:75]                // 000000009990: D100001C 012BF5F8
	v_lshrrev_b32_e32 v28, 16, v28                             // 000000009998: 20383890
	v_cmp_u_f32_e64 s[74:75], v31, v31                         // 00000000999C: D048004A 00023F1F
	v_bfe_u32 v248, v31, 16, 1                                 // 0000000099A4: D1C800F8 0205211F
	v_add3_u32 v248, v31, v248, v251                           // 0000000099AC: D1FF00F8 07EFF11F
	v_cndmask_b32_e64 v29, v248, v250, s[74:75]                // 0000000099B4: D100001D 012BF5F8
	v_and_or_b32 v162, v29, v249, v28                          // 0000000099BC: D20100A2 0473F31D
	v_mov_b32_e32 v30, v174                                    // 0000000099C4: 7E3C03AE
	v_mov_b32_e32 v31, v175                                    // 0000000099C8: 7E3E03AF
	v_cmp_u_f32_e64 s[74:75], v30, v30                         // 0000000099CC: D048004A 00023D1E
	v_bfe_u32 v248, v30, 16, 1                                 // 0000000099D4: D1C800F8 0205211E
	v_add3_u32 v248, v30, v248, v251                           // 0000000099DC: D1FF00F8 07EFF11E
	v_cndmask_b32_e64 v28, v248, v250, s[74:75]                // 0000000099E4: D100001C 012BF5F8
	v_lshrrev_b32_e32 v28, 16, v28                             // 0000000099EC: 20383890
	v_cmp_u_f32_e64 s[74:75], v31, v31                         // 0000000099F0: D048004A 00023F1F
	v_bfe_u32 v248, v31, 16, 1                                 // 0000000099F8: D1C800F8 0205211F
	v_add3_u32 v248, v31, v248, v251                           // 000000009A00: D1FF00F8 07EFF11F
	v_cndmask_b32_e64 v29, v248, v250, s[74:75]                // 000000009A08: D100001D 012BF5F8
	v_and_or_b32 v163, v29, v249, v28                          // 000000009A10: D20100A3 0473F31D
	v_mov_b32_e32 v30, v176                                    // 000000009A18: 7E3C03B0
	v_mov_b32_e32 v31, v177                                    // 000000009A1C: 7E3E03B1
	v_cmp_u_f32_e64 s[74:75], v30, v30                         // 000000009A20: D048004A 00023D1E
	v_bfe_u32 v248, v30, 16, 1                                 // 000000009A28: D1C800F8 0205211E
	v_add3_u32 v248, v30, v248, v251                           // 000000009A30: D1FF00F8 07EFF11E
	v_cndmask_b32_e64 v28, v248, v250, s[74:75]                // 000000009A38: D100001C 012BF5F8
	v_lshrrev_b32_e32 v28, 16, v28                             // 000000009A40: 20383890
	v_cmp_u_f32_e64 s[74:75], v31, v31                         // 000000009A44: D048004A 00023F1F
	v_bfe_u32 v248, v31, 16, 1                                 // 000000009A4C: D1C800F8 0205211F
	v_add3_u32 v248, v31, v248, v251                           // 000000009A54: D1FF00F8 07EFF11F
	v_cndmask_b32_e64 v29, v248, v250, s[74:75]                // 000000009A5C: D100001D 012BF5F8
	v_and_or_b32 v164, v29, v249, v28                          // 000000009A64: D20100A4 0473F31D
	v_mov_b32_e32 v30, v178                                    // 000000009A6C: 7E3C03B2
	v_mov_b32_e32 v31, v179                                    // 000000009A70: 7E3E03B3
	v_cmp_u_f32_e64 s[74:75], v30, v30                         // 000000009A74: D048004A 00023D1E
	v_bfe_u32 v248, v30, 16, 1                                 // 000000009A7C: D1C800F8 0205211E
	v_add3_u32 v248, v30, v248, v251                           // 000000009A84: D1FF00F8 07EFF11E
	v_cndmask_b32_e64 v28, v248, v250, s[74:75]                // 000000009A8C: D100001C 012BF5F8
	v_lshrrev_b32_e32 v28, 16, v28                             // 000000009A94: 20383890
	v_cmp_u_f32_e64 s[74:75], v31, v31                         // 000000009A98: D048004A 00023F1F
	v_bfe_u32 v248, v31, 16, 1                                 // 000000009AA0: D1C800F8 0205211F
	v_add3_u32 v248, v31, v248, v251                           // 000000009AA8: D1FF00F8 07EFF11F
	v_cndmask_b32_e64 v29, v248, v250, s[74:75]                // 000000009AB0: D100001D 012BF5F8
	v_and_or_b32 v165, v29, v249, v28                          // 000000009AB8: D20100A5 0473F31D
	v_mov_b32_e32 v30, v180                                    // 000000009AC0: 7E3C03B4
	v_mov_b32_e32 v31, v181                                    // 000000009AC4: 7E3E03B5
	v_cmp_u_f32_e64 s[74:75], v30, v30                         // 000000009AC8: D048004A 00023D1E
	v_bfe_u32 v248, v30, 16, 1                                 // 000000009AD0: D1C800F8 0205211E
	v_add3_u32 v248, v30, v248, v251                           // 000000009AD8: D1FF00F8 07EFF11E
	v_cndmask_b32_e64 v28, v248, v250, s[74:75]                // 000000009AE0: D100001C 012BF5F8
	v_lshrrev_b32_e32 v28, 16, v28                             // 000000009AE8: 20383890
	v_cmp_u_f32_e64 s[74:75], v31, v31                         // 000000009AEC: D048004A 00023F1F
	v_bfe_u32 v248, v31, 16, 1                                 // 000000009AF4: D1C800F8 0205211F
	v_add3_u32 v248, v31, v248, v251                           // 000000009AFC: D1FF00F8 07EFF11F
	v_cndmask_b32_e64 v29, v248, v250, s[74:75]                // 000000009B04: D100001D 012BF5F8
	v_and_or_b32 v166, v29, v249, v28                          // 000000009B0C: D20100A6 0473F31D
	v_mov_b32_e32 v30, v182                                    // 000000009B14: 7E3C03B6
	v_mov_b32_e32 v31, v183                                    // 000000009B18: 7E3E03B7
	v_cmp_u_f32_e64 s[74:75], v30, v30                         // 000000009B1C: D048004A 00023D1E
	v_bfe_u32 v248, v30, 16, 1                                 // 000000009B24: D1C800F8 0205211E
	v_add3_u32 v248, v30, v248, v251                           // 000000009B2C: D1FF00F8 07EFF11E
	v_cndmask_b32_e64 v28, v248, v250, s[74:75]                // 000000009B34: D100001C 012BF5F8
	v_lshrrev_b32_e32 v28, 16, v28                             // 000000009B3C: 20383890
	v_cmp_u_f32_e64 s[74:75], v31, v31                         // 000000009B40: D048004A 00023F1F
	v_bfe_u32 v248, v31, 16, 1                                 // 000000009B48: D1C800F8 0205211F
	v_add3_u32 v248, v31, v248, v251                           // 000000009B50: D1FF00F8 07EFF11F
	v_cndmask_b32_e64 v29, v248, v250, s[74:75]                // 000000009B58: D100001D 012BF5F8
	v_and_or_b32 v167, v29, v249, v28                          // 000000009B60: D20100A7 0473F31D
	ds_write_b64 v27, v[152:153]                               // 000000009B68: D89A0000 0000981B
	ds_write_b64 v27, v[154:155] offset:528                    // 000000009B70: D89A0210 00009A1B
	ds_write_b64 v27, v[156:157] offset:1056                   // 000000009B78: D89A0420 00009C1B
	ds_write_b64 v27, v[158:159] offset:1584                   // 000000009B80: D89A0630 00009E1B
	ds_write_b64 v27, v[160:161] offset:2112                   // 000000009B88: D89A0840 0000A01B
	ds_write_b64 v27, v[162:163] offset:2640                   // 000000009B90: D89A0A50 0000A21B
	ds_write_b64 v27, v[164:165] offset:3168                   // 000000009B98: D89A0C60 0000A41B
	ds_write_b64 v27, v[166:167] offset:3696                   // 000000009BA0: D89A0E70 0000A61B
	s_waitcnt lgkmcnt(0)                                       // 000000009BA8: BF8CC07F
	s_barrier                                                  // 000000009BAC: BF8A0000
	ds_read_b64 v[152:153], v26                                // 000000009BB0: D8EC0000 9800001A
	ds_read_b64 v[154:155], v26 offset:128                     // 000000009BB8: D8EC0080 9A00001A
	ds_read_b64 v[156:157], v26 offset:32                      // 000000009BC0: D8EC0020 9C00001A
	ds_read_b64 v[158:159], v26 offset:160                     // 000000009BC8: D8EC00A0 9E00001A
	ds_read_b64 v[160:161], v26 offset:64                      // 000000009BD0: D8EC0040 A000001A
	ds_read_b64 v[162:163], v26 offset:192                     // 000000009BD8: D8EC00C0 A200001A
	ds_read_b64 v[164:165], v26 offset:96                      // 000000009BE0: D8EC0060 A400001A
	ds_read_b64 v[166:167], v26 offset:224                     // 000000009BE8: D8EC00E0 A600001A
	s_waitcnt lgkmcnt(0)                                       // 000000009BF0: BF8CC07F
	buffer_store_dwordx4 v[152:155], v10, s[40:43], 0 idxen    // 000000009BF4: E07C2000 800A980A
	v_add_u32_e32 v10, s46, v10                                // 000000009BFC: 6814142E
	buffer_store_dwordx4 v[156:159], v10, s[40:43], 0 idxen    // 000000009C00: E07C2000 800A9C0A
	v_add_u32_e32 v10, s46, v10                                // 000000009C08: 6814142E
	buffer_store_dwordx4 v[160:163], v10, s[40:43], 0 idxen    // 000000009C0C: E07C2000 800AA00A
	v_add_u32_e32 v10, s46, v10                                // 000000009C14: 6814142E
	buffer_store_dwordx4 v[164:167], v10, s[40:43], 0 idxen    // 000000009C18: E07C2000 800AA40A
	v_add_u32_e32 v10, s46, v10                                // 000000009C20: 6814142E
	s_mul_i32 s60, 12, s46                                     // 000000009C24: 923C2E8C
	v_add_u32_e32 v10, s60, v10                                // 000000009C28: 6814143C
	s_cmp_ge_i32 1, s73                                        // 000000009C2C: BF034981
	s_cbranch_scc1 label_1A93                                  // 000000009C30: BF850306
	v_mov_b32_e32 v30, v184                                    // 000000009C34: 7E3C03B8
	v_mov_b32_e32 v31, v185                                    // 000000009C38: 7E3E03B9
	v_cmp_u_f32_e64 s[74:75], v30, v30                         // 000000009C3C: D048004A 00023D1E
	v_bfe_u32 v248, v30, 16, 1                                 // 000000009C44: D1C800F8 0205211E
	v_add3_u32 v248, v30, v248, v251                           // 000000009C4C: D1FF00F8 07EFF11E
	v_cndmask_b32_e64 v28, v248, v250, s[74:75]                // 000000009C54: D100001C 012BF5F8
	v_lshrrev_b32_e32 v28, 16, v28                             // 000000009C5C: 20383890
	v_cmp_u_f32_e64 s[74:75], v31, v31                         // 000000009C60: D048004A 00023F1F
	v_bfe_u32 v248, v31, 16, 1                                 // 000000009C68: D1C800F8 0205211F
	v_add3_u32 v248, v31, v248, v251                           // 000000009C70: D1FF00F8 07EFF11F
	v_cndmask_b32_e64 v29, v248, v250, s[74:75]                // 000000009C78: D100001D 012BF5F8
	v_and_or_b32 v168, v29, v249, v28                          // 000000009C80: D20100A8 0473F31D
	v_mov_b32_e32 v30, v186                                    // 000000009C88: 7E3C03BA
	v_mov_b32_e32 v31, v187                                    // 000000009C8C: 7E3E03BB
	v_cmp_u_f32_e64 s[74:75], v30, v30                         // 000000009C90: D048004A 00023D1E
	v_bfe_u32 v248, v30, 16, 1                                 // 000000009C98: D1C800F8 0205211E
	v_add3_u32 v248, v30, v248, v251                           // 000000009CA0: D1FF00F8 07EFF11E
	v_cndmask_b32_e64 v28, v248, v250, s[74:75]                // 000000009CA8: D100001C 012BF5F8
	v_lshrrev_b32_e32 v28, 16, v28                             // 000000009CB0: 20383890
	v_cmp_u_f32_e64 s[74:75], v31, v31                         // 000000009CB4: D048004A 00023F1F
	v_bfe_u32 v248, v31, 16, 1                                 // 000000009CBC: D1C800F8 0205211F
	v_add3_u32 v248, v31, v248, v251                           // 000000009CC4: D1FF00F8 07EFF11F
	v_cndmask_b32_e64 v29, v248, v250, s[74:75]                // 000000009CCC: D100001D 012BF5F8
	v_and_or_b32 v169, v29, v249, v28                          // 000000009CD4: D20100A9 0473F31D
	v_mov_b32_e32 v30, v188                                    // 000000009CDC: 7E3C03BC
	v_mov_b32_e32 v31, v189                                    // 000000009CE0: 7E3E03BD
	v_cmp_u_f32_e64 s[74:75], v30, v30                         // 000000009CE4: D048004A 00023D1E
	v_bfe_u32 v248, v30, 16, 1                                 // 000000009CEC: D1C800F8 0205211E
	v_add3_u32 v248, v30, v248, v251                           // 000000009CF4: D1FF00F8 07EFF11E
	v_cndmask_b32_e64 v28, v248, v250, s[74:75]                // 000000009CFC: D100001C 012BF5F8
	v_lshrrev_b32_e32 v28, 16, v28                             // 000000009D04: 20383890
	v_cmp_u_f32_e64 s[74:75], v31, v31                         // 000000009D08: D048004A 00023F1F
	v_bfe_u32 v248, v31, 16, 1                                 // 000000009D10: D1C800F8 0205211F
	v_add3_u32 v248, v31, v248, v251                           // 000000009D18: D1FF00F8 07EFF11F
	v_cndmask_b32_e64 v29, v248, v250, s[74:75]                // 000000009D20: D100001D 012BF5F8
	v_and_or_b32 v170, v29, v249, v28                          // 000000009D28: D20100AA 0473F31D
	v_mov_b32_e32 v30, v190                                    // 000000009D30: 7E3C03BE
	v_mov_b32_e32 v31, v191                                    // 000000009D34: 7E3E03BF
	v_cmp_u_f32_e64 s[74:75], v30, v30                         // 000000009D38: D048004A 00023D1E
	v_bfe_u32 v248, v30, 16, 1                                 // 000000009D40: D1C800F8 0205211E
	v_add3_u32 v248, v30, v248, v251                           // 000000009D48: D1FF00F8 07EFF11E
	v_cndmask_b32_e64 v28, v248, v250, s[74:75]                // 000000009D50: D100001C 012BF5F8
	v_lshrrev_b32_e32 v28, 16, v28                             // 000000009D58: 20383890
	v_cmp_u_f32_e64 s[74:75], v31, v31                         // 000000009D5C: D048004A 00023F1F
	v_bfe_u32 v248, v31, 16, 1                                 // 000000009D64: D1C800F8 0205211F
	v_add3_u32 v248, v31, v248, v251                           // 000000009D6C: D1FF00F8 07EFF11F
	v_cndmask_b32_e64 v29, v248, v250, s[74:75]                // 000000009D74: D100001D 012BF5F8
	v_and_or_b32 v171, v29, v249, v28                          // 000000009D7C: D20100AB 0473F31D
	v_mov_b32_e32 v30, v192                                    // 000000009D84: 7E3C03C0
	v_mov_b32_e32 v31, v193                                    // 000000009D88: 7E3E03C1
	v_cmp_u_f32_e64 s[74:75], v30, v30                         // 000000009D8C: D048004A 00023D1E
	v_bfe_u32 v248, v30, 16, 1                                 // 000000009D94: D1C800F8 0205211E
	v_add3_u32 v248, v30, v248, v251                           // 000000009D9C: D1FF00F8 07EFF11E
	v_cndmask_b32_e64 v28, v248, v250, s[74:75]                // 000000009DA4: D100001C 012BF5F8
	v_lshrrev_b32_e32 v28, 16, v28                             // 000000009DAC: 20383890
	v_cmp_u_f32_e64 s[74:75], v31, v31                         // 000000009DB0: D048004A 00023F1F
	v_bfe_u32 v248, v31, 16, 1                                 // 000000009DB8: D1C800F8 0205211F
	v_add3_u32 v248, v31, v248, v251                           // 000000009DC0: D1FF00F8 07EFF11F
	v_cndmask_b32_e64 v29, v248, v250, s[74:75]                // 000000009DC8: D100001D 012BF5F8
	v_and_or_b32 v172, v29, v249, v28                          // 000000009DD0: D20100AC 0473F31D
	v_mov_b32_e32 v30, v194                                    // 000000009DD8: 7E3C03C2
	v_mov_b32_e32 v31, v195                                    // 000000009DDC: 7E3E03C3
	v_cmp_u_f32_e64 s[74:75], v30, v30                         // 000000009DE0: D048004A 00023D1E
	v_bfe_u32 v248, v30, 16, 1                                 // 000000009DE8: D1C800F8 0205211E
	v_add3_u32 v248, v30, v248, v251                           // 000000009DF0: D1FF00F8 07EFF11E
	v_cndmask_b32_e64 v28, v248, v250, s[74:75]                // 000000009DF8: D100001C 012BF5F8
	v_lshrrev_b32_e32 v28, 16, v28                             // 000000009E00: 20383890
	v_cmp_u_f32_e64 s[74:75], v31, v31                         // 000000009E04: D048004A 00023F1F
	v_bfe_u32 v248, v31, 16, 1                                 // 000000009E0C: D1C800F8 0205211F
	v_add3_u32 v248, v31, v248, v251                           // 000000009E14: D1FF00F8 07EFF11F
	v_cndmask_b32_e64 v29, v248, v250, s[74:75]                // 000000009E1C: D100001D 012BF5F8
	v_and_or_b32 v173, v29, v249, v28                          // 000000009E24: D20100AD 0473F31D
	v_mov_b32_e32 v30, v196                                    // 000000009E2C: 7E3C03C4
	v_mov_b32_e32 v31, v197                                    // 000000009E30: 7E3E03C5
	v_cmp_u_f32_e64 s[74:75], v30, v30                         // 000000009E34: D048004A 00023D1E
	v_bfe_u32 v248, v30, 16, 1                                 // 000000009E3C: D1C800F8 0205211E
	v_add3_u32 v248, v30, v248, v251                           // 000000009E44: D1FF00F8 07EFF11E
	v_cndmask_b32_e64 v28, v248, v250, s[74:75]                // 000000009E4C: D100001C 012BF5F8
	v_lshrrev_b32_e32 v28, 16, v28                             // 000000009E54: 20383890
	v_cmp_u_f32_e64 s[74:75], v31, v31                         // 000000009E58: D048004A 00023F1F
	v_bfe_u32 v248, v31, 16, 1                                 // 000000009E60: D1C800F8 0205211F
	v_add3_u32 v248, v31, v248, v251                           // 000000009E68: D1FF00F8 07EFF11F
	v_cndmask_b32_e64 v29, v248, v250, s[74:75]                // 000000009E70: D100001D 012BF5F8
	v_and_or_b32 v174, v29, v249, v28                          // 000000009E78: D20100AE 0473F31D
	v_mov_b32_e32 v30, v198                                    // 000000009E80: 7E3C03C6
	v_mov_b32_e32 v31, v199                                    // 000000009E84: 7E3E03C7
	v_cmp_u_f32_e64 s[74:75], v30, v30                         // 000000009E88: D048004A 00023D1E
	v_bfe_u32 v248, v30, 16, 1                                 // 000000009E90: D1C800F8 0205211E
	v_add3_u32 v248, v30, v248, v251                           // 000000009E98: D1FF00F8 07EFF11E
	v_cndmask_b32_e64 v28, v248, v250, s[74:75]                // 000000009EA0: D100001C 012BF5F8
	v_lshrrev_b32_e32 v28, 16, v28                             // 000000009EA8: 20383890
	v_cmp_u_f32_e64 s[74:75], v31, v31                         // 000000009EAC: D048004A 00023F1F
	v_bfe_u32 v248, v31, 16, 1                                 // 000000009EB4: D1C800F8 0205211F
	v_add3_u32 v248, v31, v248, v251                           // 000000009EBC: D1FF00F8 07EFF11F
	v_cndmask_b32_e64 v29, v248, v250, s[74:75]                // 000000009EC4: D100001D 012BF5F8
	v_and_or_b32 v175, v29, v249, v28                          // 000000009ECC: D20100AF 0473F31D
	v_mov_b32_e32 v30, v200                                    // 000000009ED4: 7E3C03C8
	v_mov_b32_e32 v31, v201                                    // 000000009ED8: 7E3E03C9
	v_cmp_u_f32_e64 s[74:75], v30, v30                         // 000000009EDC: D048004A 00023D1E
	v_bfe_u32 v248, v30, 16, 1                                 // 000000009EE4: D1C800F8 0205211E
	v_add3_u32 v248, v30, v248, v251                           // 000000009EEC: D1FF00F8 07EFF11E
	v_cndmask_b32_e64 v28, v248, v250, s[74:75]                // 000000009EF4: D100001C 012BF5F8
	v_lshrrev_b32_e32 v28, 16, v28                             // 000000009EFC: 20383890
	v_cmp_u_f32_e64 s[74:75], v31, v31                         // 000000009F00: D048004A 00023F1F
	v_bfe_u32 v248, v31, 16, 1                                 // 000000009F08: D1C800F8 0205211F
	v_add3_u32 v248, v31, v248, v251                           // 000000009F10: D1FF00F8 07EFF11F
	v_cndmask_b32_e64 v29, v248, v250, s[74:75]                // 000000009F18: D100001D 012BF5F8
	v_and_or_b32 v176, v29, v249, v28                          // 000000009F20: D20100B0 0473F31D
	v_mov_b32_e32 v30, v202                                    // 000000009F28: 7E3C03CA
	v_mov_b32_e32 v31, v203                                    // 000000009F2C: 7E3E03CB
	v_cmp_u_f32_e64 s[74:75], v30, v30                         // 000000009F30: D048004A 00023D1E
	v_bfe_u32 v248, v30, 16, 1                                 // 000000009F38: D1C800F8 0205211E
	v_add3_u32 v248, v30, v248, v251                           // 000000009F40: D1FF00F8 07EFF11E
	v_cndmask_b32_e64 v28, v248, v250, s[74:75]                // 000000009F48: D100001C 012BF5F8
	v_lshrrev_b32_e32 v28, 16, v28                             // 000000009F50: 20383890
	v_cmp_u_f32_e64 s[74:75], v31, v31                         // 000000009F54: D048004A 00023F1F
	v_bfe_u32 v248, v31, 16, 1                                 // 000000009F5C: D1C800F8 0205211F
	v_add3_u32 v248, v31, v248, v251                           // 000000009F64: D1FF00F8 07EFF11F
	v_cndmask_b32_e64 v29, v248, v250, s[74:75]                // 000000009F6C: D100001D 012BF5F8
	v_and_or_b32 v177, v29, v249, v28                          // 000000009F74: D20100B1 0473F31D
	v_mov_b32_e32 v30, v204                                    // 000000009F7C: 7E3C03CC
	v_mov_b32_e32 v31, v205                                    // 000000009F80: 7E3E03CD
	v_cmp_u_f32_e64 s[74:75], v30, v30                         // 000000009F84: D048004A 00023D1E
	v_bfe_u32 v248, v30, 16, 1                                 // 000000009F8C: D1C800F8 0205211E
	v_add3_u32 v248, v30, v248, v251                           // 000000009F94: D1FF00F8 07EFF11E
	v_cndmask_b32_e64 v28, v248, v250, s[74:75]                // 000000009F9C: D100001C 012BF5F8
	v_lshrrev_b32_e32 v28, 16, v28                             // 000000009FA4: 20383890
	v_cmp_u_f32_e64 s[74:75], v31, v31                         // 000000009FA8: D048004A 00023F1F
	v_bfe_u32 v248, v31, 16, 1                                 // 000000009FB0: D1C800F8 0205211F
	v_add3_u32 v248, v31, v248, v251                           // 000000009FB8: D1FF00F8 07EFF11F
	v_cndmask_b32_e64 v29, v248, v250, s[74:75]                // 000000009FC0: D100001D 012BF5F8
	v_and_or_b32 v178, v29, v249, v28                          // 000000009FC8: D20100B2 0473F31D
	v_mov_b32_e32 v30, v206                                    // 000000009FD0: 7E3C03CE
	v_mov_b32_e32 v31, v207                                    // 000000009FD4: 7E3E03CF
	v_cmp_u_f32_e64 s[74:75], v30, v30                         // 000000009FD8: D048004A 00023D1E
	v_bfe_u32 v248, v30, 16, 1                                 // 000000009FE0: D1C800F8 0205211E
	v_add3_u32 v248, v30, v248, v251                           // 000000009FE8: D1FF00F8 07EFF11E
	v_cndmask_b32_e64 v28, v248, v250, s[74:75]                // 000000009FF0: D100001C 012BF5F8
	v_lshrrev_b32_e32 v28, 16, v28                             // 000000009FF8: 20383890
	v_cmp_u_f32_e64 s[74:75], v31, v31                         // 000000009FFC: D048004A 00023F1F
	v_bfe_u32 v248, v31, 16, 1                                 // 00000000A004: D1C800F8 0205211F
	v_add3_u32 v248, v31, v248, v251                           // 00000000A00C: D1FF00F8 07EFF11F
	v_cndmask_b32_e64 v29, v248, v250, s[74:75]                // 00000000A014: D100001D 012BF5F8
	v_and_or_b32 v179, v29, v249, v28                          // 00000000A01C: D20100B3 0473F31D
	v_mov_b32_e32 v30, v208                                    // 00000000A024: 7E3C03D0
	v_mov_b32_e32 v31, v209                                    // 00000000A028: 7E3E03D1
	v_cmp_u_f32_e64 s[74:75], v30, v30                         // 00000000A02C: D048004A 00023D1E
	v_bfe_u32 v248, v30, 16, 1                                 // 00000000A034: D1C800F8 0205211E
	v_add3_u32 v248, v30, v248, v251                           // 00000000A03C: D1FF00F8 07EFF11E
	v_cndmask_b32_e64 v28, v248, v250, s[74:75]                // 00000000A044: D100001C 012BF5F8
	v_lshrrev_b32_e32 v28, 16, v28                             // 00000000A04C: 20383890
	v_cmp_u_f32_e64 s[74:75], v31, v31                         // 00000000A050: D048004A 00023F1F
	v_bfe_u32 v248, v31, 16, 1                                 // 00000000A058: D1C800F8 0205211F
	v_add3_u32 v248, v31, v248, v251                           // 00000000A060: D1FF00F8 07EFF11F
	v_cndmask_b32_e64 v29, v248, v250, s[74:75]                // 00000000A068: D100001D 012BF5F8
	v_and_or_b32 v180, v29, v249, v28                          // 00000000A070: D20100B4 0473F31D
	v_mov_b32_e32 v30, v210                                    // 00000000A078: 7E3C03D2
	v_mov_b32_e32 v31, v211                                    // 00000000A07C: 7E3E03D3
	v_cmp_u_f32_e64 s[74:75], v30, v30                         // 00000000A080: D048004A 00023D1E
	v_bfe_u32 v248, v30, 16, 1                                 // 00000000A088: D1C800F8 0205211E
	v_add3_u32 v248, v30, v248, v251                           // 00000000A090: D1FF00F8 07EFF11E
	v_cndmask_b32_e64 v28, v248, v250, s[74:75]                // 00000000A098: D100001C 012BF5F8
	v_lshrrev_b32_e32 v28, 16, v28                             // 00000000A0A0: 20383890
	v_cmp_u_f32_e64 s[74:75], v31, v31                         // 00000000A0A4: D048004A 00023F1F
	v_bfe_u32 v248, v31, 16, 1                                 // 00000000A0AC: D1C800F8 0205211F
	v_add3_u32 v248, v31, v248, v251                           // 00000000A0B4: D1FF00F8 07EFF11F
	v_cndmask_b32_e64 v29, v248, v250, s[74:75]                // 00000000A0BC: D100001D 012BF5F8
	v_and_or_b32 v181, v29, v249, v28                          // 00000000A0C4: D20100B5 0473F31D
	v_mov_b32_e32 v30, v212                                    // 00000000A0CC: 7E3C03D4
	v_mov_b32_e32 v31, v213                                    // 00000000A0D0: 7E3E03D5
	v_cmp_u_f32_e64 s[74:75], v30, v30                         // 00000000A0D4: D048004A 00023D1E
	v_bfe_u32 v248, v30, 16, 1                                 // 00000000A0DC: D1C800F8 0205211E
	v_add3_u32 v248, v30, v248, v251                           // 00000000A0E4: D1FF00F8 07EFF11E
	v_cndmask_b32_e64 v28, v248, v250, s[74:75]                // 00000000A0EC: D100001C 012BF5F8
	v_lshrrev_b32_e32 v28, 16, v28                             // 00000000A0F4: 20383890
	v_cmp_u_f32_e64 s[74:75], v31, v31                         // 00000000A0F8: D048004A 00023F1F
	v_bfe_u32 v248, v31, 16, 1                                 // 00000000A100: D1C800F8 0205211F
	v_add3_u32 v248, v31, v248, v251                           // 00000000A108: D1FF00F8 07EFF11F
	v_cndmask_b32_e64 v29, v248, v250, s[74:75]                // 00000000A110: D100001D 012BF5F8
	v_and_or_b32 v182, v29, v249, v28                          // 00000000A118: D20100B6 0473F31D
	v_mov_b32_e32 v30, v214                                    // 00000000A120: 7E3C03D6
	v_mov_b32_e32 v31, v215                                    // 00000000A124: 7E3E03D7
	v_cmp_u_f32_e64 s[74:75], v30, v30                         // 00000000A128: D048004A 00023D1E
	v_bfe_u32 v248, v30, 16, 1                                 // 00000000A130: D1C800F8 0205211E
	v_add3_u32 v248, v30, v248, v251                           // 00000000A138: D1FF00F8 07EFF11E
	v_cndmask_b32_e64 v28, v248, v250, s[74:75]                // 00000000A140: D100001C 012BF5F8
	v_lshrrev_b32_e32 v28, 16, v28                             // 00000000A148: 20383890
	v_cmp_u_f32_e64 s[74:75], v31, v31                         // 00000000A14C: D048004A 00023F1F
	v_bfe_u32 v248, v31, 16, 1                                 // 00000000A154: D1C800F8 0205211F
	v_add3_u32 v248, v31, v248, v251                           // 00000000A15C: D1FF00F8 07EFF11F
	v_cndmask_b32_e64 v29, v248, v250, s[74:75]                // 00000000A164: D100001D 012BF5F8
	v_and_or_b32 v183, v29, v249, v28                          // 00000000A16C: D20100B7 0473F31D
	ds_write_b64 v27, v[168:169] offset:16896                  // 00000000A174: D89A4200 0000A81B
	ds_write_b64 v27, v[170:171] offset:17424                  // 00000000A17C: D89A4410 0000AA1B
	ds_write_b64 v27, v[172:173] offset:17952                  // 00000000A184: D89A4620 0000AC1B
	ds_write_b64 v27, v[174:175] offset:18480                  // 00000000A18C: D89A4830 0000AE1B
	ds_write_b64 v27, v[176:177] offset:19008                  // 00000000A194: D89A4A40 0000B01B
	ds_write_b64 v27, v[178:179] offset:19536                  // 00000000A19C: D89A4C50 0000B21B
	ds_write_b64 v27, v[180:181] offset:20064                  // 00000000A1A4: D89A4E60 0000B41B
	ds_write_b64 v27, v[182:183] offset:20592                  // 00000000A1AC: D89A5070 0000B61B
	s_waitcnt lgkmcnt(0)                                       // 00000000A1B4: BF8CC07F
	s_barrier                                                  // 00000000A1B8: BF8A0000
	ds_read_b64 v[168:169], v26 offset:16896                   // 00000000A1BC: D8EC4200 A800001A
	ds_read_b64 v[170:171], v26 offset:17024                   // 00000000A1C4: D8EC4280 AA00001A
	ds_read_b64 v[172:173], v26 offset:16928                   // 00000000A1CC: D8EC4220 AC00001A
	ds_read_b64 v[174:175], v26 offset:17056                   // 00000000A1D4: D8EC42A0 AE00001A
	ds_read_b64 v[176:177], v26 offset:16960                   // 00000000A1DC: D8EC4240 B000001A
	ds_read_b64 v[178:179], v26 offset:17088                   // 00000000A1E4: D8EC42C0 B200001A
	ds_read_b64 v[180:181], v26 offset:16992                   // 00000000A1EC: D8EC4260 B400001A
	ds_read_b64 v[182:183], v26 offset:17120                   // 00000000A1F4: D8EC42E0 B600001A
	s_waitcnt lgkmcnt(0)                                       // 00000000A1FC: BF8CC07F
	buffer_store_dwordx4 v[168:171], v10, s[40:43], 0 idxen    // 00000000A200: E07C2000 800AA80A
	v_add_u32_e32 v10, s46, v10                                // 00000000A208: 6814142E
	buffer_store_dwordx4 v[172:175], v10, s[40:43], 0 idxen    // 00000000A20C: E07C2000 800AAC0A
	v_add_u32_e32 v10, s46, v10                                // 00000000A214: 6814142E
	buffer_store_dwordx4 v[176:179], v10, s[40:43], 0 idxen    // 00000000A218: E07C2000 800AB00A
	v_add_u32_e32 v10, s46, v10                                // 00000000A220: 6814142E
	buffer_store_dwordx4 v[180:183], v10, s[40:43], 0 idxen    // 00000000A224: E07C2000 800AB40A
	v_add_u32_e32 v10, s46, v10                                // 00000000A22C: 6814142E
	s_mul_i32 s60, 12, s46                                     // 00000000A230: 923C2E8C
	v_add_u32_e32 v10, s60, v10                                // 00000000A234: 6814143C
	s_cmp_ge_i32 2, s73                                        // 00000000A238: BF034982
	s_cbranch_scc1 label_1A93                                  // 00000000A23C: BF850183
	v_mov_b32_e32 v30, v216                                    // 00000000A240: 7E3C03D8
	v_mov_b32_e32 v31, v217                                    // 00000000A244: 7E3E03D9
	v_cmp_u_f32_e64 s[74:75], v30, v30                         // 00000000A248: D048004A 00023D1E
	v_bfe_u32 v248, v30, 16, 1                                 // 00000000A250: D1C800F8 0205211E
	v_add3_u32 v248, v30, v248, v251                           // 00000000A258: D1FF00F8 07EFF11E
	v_cndmask_b32_e64 v28, v248, v250, s[74:75]                // 00000000A260: D100001C 012BF5F8
	v_lshrrev_b32_e32 v28, 16, v28                             // 00000000A268: 20383890
	v_cmp_u_f32_e64 s[74:75], v31, v31                         // 00000000A26C: D048004A 00023F1F
	v_bfe_u32 v248, v31, 16, 1                                 // 00000000A274: D1C800F8 0205211F
	v_add3_u32 v248, v31, v248, v251                           // 00000000A27C: D1FF00F8 07EFF11F
	v_cndmask_b32_e64 v29, v248, v250, s[74:75]                // 00000000A284: D100001D 012BF5F8
	v_and_or_b32 v184, v29, v249, v28                          // 00000000A28C: D20100B8 0473F31D
	v_mov_b32_e32 v30, v218                                    // 00000000A294: 7E3C03DA
	v_mov_b32_e32 v31, v219                                    // 00000000A298: 7E3E03DB
	v_cmp_u_f32_e64 s[74:75], v30, v30                         // 00000000A29C: D048004A 00023D1E
	v_bfe_u32 v248, v30, 16, 1                                 // 00000000A2A4: D1C800F8 0205211E
	v_add3_u32 v248, v30, v248, v251                           // 00000000A2AC: D1FF00F8 07EFF11E
	v_cndmask_b32_e64 v28, v248, v250, s[74:75]                // 00000000A2B4: D100001C 012BF5F8
	v_lshrrev_b32_e32 v28, 16, v28                             // 00000000A2BC: 20383890
	v_cmp_u_f32_e64 s[74:75], v31, v31                         // 00000000A2C0: D048004A 00023F1F
	v_bfe_u32 v248, v31, 16, 1                                 // 00000000A2C8: D1C800F8 0205211F
	v_add3_u32 v248, v31, v248, v251                           // 00000000A2D0: D1FF00F8 07EFF11F
	v_cndmask_b32_e64 v29, v248, v250, s[74:75]                // 00000000A2D8: D100001D 012BF5F8
	v_and_or_b32 v185, v29, v249, v28                          // 00000000A2E0: D20100B9 0473F31D
	v_mov_b32_e32 v30, v220                                    // 00000000A2E8: 7E3C03DC
	v_mov_b32_e32 v31, v221                                    // 00000000A2EC: 7E3E03DD
	v_cmp_u_f32_e64 s[74:75], v30, v30                         // 00000000A2F0: D048004A 00023D1E
	v_bfe_u32 v248, v30, 16, 1                                 // 00000000A2F8: D1C800F8 0205211E
	v_add3_u32 v248, v30, v248, v251                           // 00000000A300: D1FF00F8 07EFF11E
	v_cndmask_b32_e64 v28, v248, v250, s[74:75]                // 00000000A308: D100001C 012BF5F8
	v_lshrrev_b32_e32 v28, 16, v28                             // 00000000A310: 20383890
	v_cmp_u_f32_e64 s[74:75], v31, v31                         // 00000000A314: D048004A 00023F1F
	v_bfe_u32 v248, v31, 16, 1                                 // 00000000A31C: D1C800F8 0205211F
	v_add3_u32 v248, v31, v248, v251                           // 00000000A324: D1FF00F8 07EFF11F
	v_cndmask_b32_e64 v29, v248, v250, s[74:75]                // 00000000A32C: D100001D 012BF5F8
	v_and_or_b32 v186, v29, v249, v28                          // 00000000A334: D20100BA 0473F31D
	v_mov_b32_e32 v30, v222                                    // 00000000A33C: 7E3C03DE
	v_mov_b32_e32 v31, v223                                    // 00000000A340: 7E3E03DF
	v_cmp_u_f32_e64 s[74:75], v30, v30                         // 00000000A344: D048004A 00023D1E
	v_bfe_u32 v248, v30, 16, 1                                 // 00000000A34C: D1C800F8 0205211E
	v_add3_u32 v248, v30, v248, v251                           // 00000000A354: D1FF00F8 07EFF11E
	v_cndmask_b32_e64 v28, v248, v250, s[74:75]                // 00000000A35C: D100001C 012BF5F8
	v_lshrrev_b32_e32 v28, 16, v28                             // 00000000A364: 20383890
	v_cmp_u_f32_e64 s[74:75], v31, v31                         // 00000000A368: D048004A 00023F1F
	v_bfe_u32 v248, v31, 16, 1                                 // 00000000A370: D1C800F8 0205211F
	v_add3_u32 v248, v31, v248, v251                           // 00000000A378: D1FF00F8 07EFF11F
	v_cndmask_b32_e64 v29, v248, v250, s[74:75]                // 00000000A380: D100001D 012BF5F8
	v_and_or_b32 v187, v29, v249, v28                          // 00000000A388: D20100BB 0473F31D
	v_mov_b32_e32 v30, v224                                    // 00000000A390: 7E3C03E0
	v_mov_b32_e32 v31, v225                                    // 00000000A394: 7E3E03E1
	v_cmp_u_f32_e64 s[74:75], v30, v30                         // 00000000A398: D048004A 00023D1E
	v_bfe_u32 v248, v30, 16, 1                                 // 00000000A3A0: D1C800F8 0205211E
	v_add3_u32 v248, v30, v248, v251                           // 00000000A3A8: D1FF00F8 07EFF11E
	v_cndmask_b32_e64 v28, v248, v250, s[74:75]                // 00000000A3B0: D100001C 012BF5F8
	v_lshrrev_b32_e32 v28, 16, v28                             // 00000000A3B8: 20383890
	v_cmp_u_f32_e64 s[74:75], v31, v31                         // 00000000A3BC: D048004A 00023F1F
	v_bfe_u32 v248, v31, 16, 1                                 // 00000000A3C4: D1C800F8 0205211F
	v_add3_u32 v248, v31, v248, v251                           // 00000000A3CC: D1FF00F8 07EFF11F
	v_cndmask_b32_e64 v29, v248, v250, s[74:75]                // 00000000A3D4: D100001D 012BF5F8
	v_and_or_b32 v188, v29, v249, v28                          // 00000000A3DC: D20100BC 0473F31D
	v_mov_b32_e32 v30, v226                                    // 00000000A3E4: 7E3C03E2
	v_mov_b32_e32 v31, v227                                    // 00000000A3E8: 7E3E03E3
	v_cmp_u_f32_e64 s[74:75], v30, v30                         // 00000000A3EC: D048004A 00023D1E
	v_bfe_u32 v248, v30, 16, 1                                 // 00000000A3F4: D1C800F8 0205211E
	v_add3_u32 v248, v30, v248, v251                           // 00000000A3FC: D1FF00F8 07EFF11E
	v_cndmask_b32_e64 v28, v248, v250, s[74:75]                // 00000000A404: D100001C 012BF5F8
	v_lshrrev_b32_e32 v28, 16, v28                             // 00000000A40C: 20383890
	v_cmp_u_f32_e64 s[74:75], v31, v31                         // 00000000A410: D048004A 00023F1F
	v_bfe_u32 v248, v31, 16, 1                                 // 00000000A418: D1C800F8 0205211F
	v_add3_u32 v248, v31, v248, v251                           // 00000000A420: D1FF00F8 07EFF11F
	v_cndmask_b32_e64 v29, v248, v250, s[74:75]                // 00000000A428: D100001D 012BF5F8
	v_and_or_b32 v189, v29, v249, v28                          // 00000000A430: D20100BD 0473F31D
	v_mov_b32_e32 v30, v228                                    // 00000000A438: 7E3C03E4
	v_mov_b32_e32 v31, v229                                    // 00000000A43C: 7E3E03E5
	v_cmp_u_f32_e64 s[74:75], v30, v30                         // 00000000A440: D048004A 00023D1E
	v_bfe_u32 v248, v30, 16, 1                                 // 00000000A448: D1C800F8 0205211E
	v_add3_u32 v248, v30, v248, v251                           // 00000000A450: D1FF00F8 07EFF11E
	v_cndmask_b32_e64 v28, v248, v250, s[74:75]                // 00000000A458: D100001C 012BF5F8
	v_lshrrev_b32_e32 v28, 16, v28                             // 00000000A460: 20383890
	v_cmp_u_f32_e64 s[74:75], v31, v31                         // 00000000A464: D048004A 00023F1F
	v_bfe_u32 v248, v31, 16, 1                                 // 00000000A46C: D1C800F8 0205211F
	v_add3_u32 v248, v31, v248, v251                           // 00000000A474: D1FF00F8 07EFF11F
	v_cndmask_b32_e64 v29, v248, v250, s[74:75]                // 00000000A47C: D100001D 012BF5F8
	v_and_or_b32 v190, v29, v249, v28                          // 00000000A484: D20100BE 0473F31D
	v_mov_b32_e32 v30, v230                                    // 00000000A48C: 7E3C03E6
	v_mov_b32_e32 v31, v231                                    // 00000000A490: 7E3E03E7
	v_cmp_u_f32_e64 s[74:75], v30, v30                         // 00000000A494: D048004A 00023D1E
	v_bfe_u32 v248, v30, 16, 1                                 // 00000000A49C: D1C800F8 0205211E
	v_add3_u32 v248, v30, v248, v251                           // 00000000A4A4: D1FF00F8 07EFF11E
	v_cndmask_b32_e64 v28, v248, v250, s[74:75]                // 00000000A4AC: D100001C 012BF5F8
	v_lshrrev_b32_e32 v28, 16, v28                             // 00000000A4B4: 20383890
	v_cmp_u_f32_e64 s[74:75], v31, v31                         // 00000000A4B8: D048004A 00023F1F
	v_bfe_u32 v248, v31, 16, 1                                 // 00000000A4C0: D1C800F8 0205211F
	v_add3_u32 v248, v31, v248, v251                           // 00000000A4C8: D1FF00F8 07EFF11F
	v_cndmask_b32_e64 v29, v248, v250, s[74:75]                // 00000000A4D0: D100001D 012BF5F8
	v_and_or_b32 v191, v29, v249, v28                          // 00000000A4D8: D20100BF 0473F31D
	v_mov_b32_e32 v30, v232                                    // 00000000A4E0: 7E3C03E8
	v_mov_b32_e32 v31, v233                                    // 00000000A4E4: 7E3E03E9
	v_cmp_u_f32_e64 s[74:75], v30, v30                         // 00000000A4E8: D048004A 00023D1E
	v_bfe_u32 v248, v30, 16, 1                                 // 00000000A4F0: D1C800F8 0205211E
	v_add3_u32 v248, v30, v248, v251                           // 00000000A4F8: D1FF00F8 07EFF11E
	v_cndmask_b32_e64 v28, v248, v250, s[74:75]                // 00000000A500: D100001C 012BF5F8
	v_lshrrev_b32_e32 v28, 16, v28                             // 00000000A508: 20383890
	v_cmp_u_f32_e64 s[74:75], v31, v31                         // 00000000A50C: D048004A 00023F1F
	v_bfe_u32 v248, v31, 16, 1                                 // 00000000A514: D1C800F8 0205211F
	v_add3_u32 v248, v31, v248, v251                           // 00000000A51C: D1FF00F8 07EFF11F
	v_cndmask_b32_e64 v29, v248, v250, s[74:75]                // 00000000A524: D100001D 012BF5F8
	v_and_or_b32 v192, v29, v249, v28                          // 00000000A52C: D20100C0 0473F31D
	v_mov_b32_e32 v30, v234                                    // 00000000A534: 7E3C03EA
	v_mov_b32_e32 v31, v235                                    // 00000000A538: 7E3E03EB
	v_cmp_u_f32_e64 s[74:75], v30, v30                         // 00000000A53C: D048004A 00023D1E
	v_bfe_u32 v248, v30, 16, 1                                 // 00000000A544: D1C800F8 0205211E
	v_add3_u32 v248, v30, v248, v251                           // 00000000A54C: D1FF00F8 07EFF11E
	v_cndmask_b32_e64 v28, v248, v250, s[74:75]                // 00000000A554: D100001C 012BF5F8
	v_lshrrev_b32_e32 v28, 16, v28                             // 00000000A55C: 20383890
	v_cmp_u_f32_e64 s[74:75], v31, v31                         // 00000000A560: D048004A 00023F1F
	v_bfe_u32 v248, v31, 16, 1                                 // 00000000A568: D1C800F8 0205211F
	v_add3_u32 v248, v31, v248, v251                           // 00000000A570: D1FF00F8 07EFF11F
	v_cndmask_b32_e64 v29, v248, v250, s[74:75]                // 00000000A578: D100001D 012BF5F8
	v_and_or_b32 v193, v29, v249, v28                          // 00000000A580: D20100C1 0473F31D
	v_mov_b32_e32 v30, v236                                    // 00000000A588: 7E3C03EC
	v_mov_b32_e32 v31, v237                                    // 00000000A58C: 7E3E03ED
	v_cmp_u_f32_e64 s[74:75], v30, v30                         // 00000000A590: D048004A 00023D1E
	v_bfe_u32 v248, v30, 16, 1                                 // 00000000A598: D1C800F8 0205211E
	v_add3_u32 v248, v30, v248, v251                           // 00000000A5A0: D1FF00F8 07EFF11E
	v_cndmask_b32_e64 v28, v248, v250, s[74:75]                // 00000000A5A8: D100001C 012BF5F8
	v_lshrrev_b32_e32 v28, 16, v28                             // 00000000A5B0: 20383890
	v_cmp_u_f32_e64 s[74:75], v31, v31                         // 00000000A5B4: D048004A 00023F1F
	v_bfe_u32 v248, v31, 16, 1                                 // 00000000A5BC: D1C800F8 0205211F
	v_add3_u32 v248, v31, v248, v251                           // 00000000A5C4: D1FF00F8 07EFF11F
	v_cndmask_b32_e64 v29, v248, v250, s[74:75]                // 00000000A5CC: D100001D 012BF5F8
	v_and_or_b32 v194, v29, v249, v28                          // 00000000A5D4: D20100C2 0473F31D
	v_mov_b32_e32 v30, v238                                    // 00000000A5DC: 7E3C03EE
	v_mov_b32_e32 v31, v239                                    // 00000000A5E0: 7E3E03EF
	v_cmp_u_f32_e64 s[74:75], v30, v30                         // 00000000A5E4: D048004A 00023D1E
	v_bfe_u32 v248, v30, 16, 1                                 // 00000000A5EC: D1C800F8 0205211E
	v_add3_u32 v248, v30, v248, v251                           // 00000000A5F4: D1FF00F8 07EFF11E
	v_cndmask_b32_e64 v28, v248, v250, s[74:75]                // 00000000A5FC: D100001C 012BF5F8
	v_lshrrev_b32_e32 v28, 16, v28                             // 00000000A604: 20383890
	v_cmp_u_f32_e64 s[74:75], v31, v31                         // 00000000A608: D048004A 00023F1F
	v_bfe_u32 v248, v31, 16, 1                                 // 00000000A610: D1C800F8 0205211F
	v_add3_u32 v248, v31, v248, v251                           // 00000000A618: D1FF00F8 07EFF11F
	v_cndmask_b32_e64 v29, v248, v250, s[74:75]                // 00000000A620: D100001D 012BF5F8
	v_and_or_b32 v195, v29, v249, v28                          // 00000000A628: D20100C3 0473F31D
	v_mov_b32_e32 v30, v240                                    // 00000000A630: 7E3C03F0
	v_mov_b32_e32 v31, v241                                    // 00000000A634: 7E3E03F1
	v_cmp_u_f32_e64 s[74:75], v30, v30                         // 00000000A638: D048004A 00023D1E
	v_bfe_u32 v248, v30, 16, 1                                 // 00000000A640: D1C800F8 0205211E
	v_add3_u32 v248, v30, v248, v251                           // 00000000A648: D1FF00F8 07EFF11E
	v_cndmask_b32_e64 v28, v248, v250, s[74:75]                // 00000000A650: D100001C 012BF5F8
	v_lshrrev_b32_e32 v28, 16, v28                             // 00000000A658: 20383890
	v_cmp_u_f32_e64 s[74:75], v31, v31                         // 00000000A65C: D048004A 00023F1F
	v_bfe_u32 v248, v31, 16, 1                                 // 00000000A664: D1C800F8 0205211F
	v_add3_u32 v248, v31, v248, v251                           // 00000000A66C: D1FF00F8 07EFF11F
	v_cndmask_b32_e64 v29, v248, v250, s[74:75]                // 00000000A674: D100001D 012BF5F8
	v_and_or_b32 v196, v29, v249, v28                          // 00000000A67C: D20100C4 0473F31D
	v_mov_b32_e32 v30, v242                                    // 00000000A684: 7E3C03F2
	v_mov_b32_e32 v31, v243                                    // 00000000A688: 7E3E03F3
	v_cmp_u_f32_e64 s[74:75], v30, v30                         // 00000000A68C: D048004A 00023D1E
	v_bfe_u32 v248, v30, 16, 1                                 // 00000000A694: D1C800F8 0205211E
	v_add3_u32 v248, v30, v248, v251                           // 00000000A69C: D1FF00F8 07EFF11E
	v_cndmask_b32_e64 v28, v248, v250, s[74:75]                // 00000000A6A4: D100001C 012BF5F8
	v_lshrrev_b32_e32 v28, 16, v28                             // 00000000A6AC: 20383890
	v_cmp_u_f32_e64 s[74:75], v31, v31                         // 00000000A6B0: D048004A 00023F1F
	v_bfe_u32 v248, v31, 16, 1                                 // 00000000A6B8: D1C800F8 0205211F
	v_add3_u32 v248, v31, v248, v251                           // 00000000A6C0: D1FF00F8 07EFF11F
	v_cndmask_b32_e64 v29, v248, v250, s[74:75]                // 00000000A6C8: D100001D 012BF5F8
	v_and_or_b32 v197, v29, v249, v28                          // 00000000A6D0: D20100C5 0473F31D
	v_mov_b32_e32 v30, v244                                    // 00000000A6D8: 7E3C03F4
	v_mov_b32_e32 v31, v245                                    // 00000000A6DC: 7E3E03F5
	v_cmp_u_f32_e64 s[74:75], v30, v30                         // 00000000A6E0: D048004A 00023D1E
	v_bfe_u32 v248, v30, 16, 1                                 // 00000000A6E8: D1C800F8 0205211E
	v_add3_u32 v248, v30, v248, v251                           // 00000000A6F0: D1FF00F8 07EFF11E
	v_cndmask_b32_e64 v28, v248, v250, s[74:75]                // 00000000A6F8: D100001C 012BF5F8
	v_lshrrev_b32_e32 v28, 16, v28                             // 00000000A700: 20383890
	v_cmp_u_f32_e64 s[74:75], v31, v31                         // 00000000A704: D048004A 00023F1F
	v_bfe_u32 v248, v31, 16, 1                                 // 00000000A70C: D1C800F8 0205211F
	v_add3_u32 v248, v31, v248, v251                           // 00000000A714: D1FF00F8 07EFF11F
	v_cndmask_b32_e64 v29, v248, v250, s[74:75]                // 00000000A71C: D100001D 012BF5F8
	v_and_or_b32 v198, v29, v249, v28                          // 00000000A724: D20100C6 0473F31D
	v_mov_b32_e32 v30, v246                                    // 00000000A72C: 7E3C03F6
	v_mov_b32_e32 v31, v247                                    // 00000000A730: 7E3E03F7
	v_cmp_u_f32_e64 s[74:75], v30, v30                         // 00000000A734: D048004A 00023D1E
	v_bfe_u32 v248, v30, 16, 1                                 // 00000000A73C: D1C800F8 0205211E
	v_add3_u32 v248, v30, v248, v251                           // 00000000A744: D1FF00F8 07EFF11E
	v_cndmask_b32_e64 v28, v248, v250, s[74:75]                // 00000000A74C: D100001C 012BF5F8
	v_lshrrev_b32_e32 v28, 16, v28                             // 00000000A754: 20383890
	v_cmp_u_f32_e64 s[74:75], v31, v31                         // 00000000A758: D048004A 00023F1F
	v_bfe_u32 v248, v31, 16, 1                                 // 00000000A760: D1C800F8 0205211F
	v_add3_u32 v248, v31, v248, v251                           // 00000000A768: D1FF00F8 07EFF11F
	v_cndmask_b32_e64 v29, v248, v250, s[74:75]                // 00000000A770: D100001D 012BF5F8
	v_and_or_b32 v199, v29, v249, v28                          // 00000000A778: D20100C7 0473F31D
	ds_write_b64 v27, v[184:185] offset:33792                  // 00000000A780: D89A8400 0000B81B
	ds_write_b64 v27, v[186:187] offset:34320                  // 00000000A788: D89A8610 0000BA1B
	ds_write_b64 v27, v[188:189] offset:34848                  // 00000000A790: D89A8820 0000BC1B
	ds_write_b64 v27, v[190:191] offset:35376                  // 00000000A798: D89A8A30 0000BE1B
	ds_write_b64 v27, v[192:193] offset:35904                  // 00000000A7A0: D89A8C40 0000C01B
	ds_write_b64 v27, v[194:195] offset:36432                  // 00000000A7A8: D89A8E50 0000C21B
	ds_write_b64 v27, v[196:197] offset:36960                  // 00000000A7B0: D89A9060 0000C41B
	ds_write_b64 v27, v[198:199] offset:37488                  // 00000000A7B8: D89A9270 0000C61B
	s_waitcnt lgkmcnt(0)                                       // 00000000A7C0: BF8CC07F
	s_barrier                                                  // 00000000A7C4: BF8A0000
	ds_read_b64 v[184:185], v26 offset:33792                   // 00000000A7C8: D8EC8400 B800001A
	ds_read_b64 v[186:187], v26 offset:33920                   // 00000000A7D0: D8EC8480 BA00001A
	ds_read_b64 v[188:189], v26 offset:33824                   // 00000000A7D8: D8EC8420 BC00001A
	ds_read_b64 v[190:191], v26 offset:33952                   // 00000000A7E0: D8EC84A0 BE00001A
	ds_read_b64 v[192:193], v26 offset:33856                   // 00000000A7E8: D8EC8440 C000001A
	ds_read_b64 v[194:195], v26 offset:33984                   // 00000000A7F0: D8EC84C0 C200001A
	ds_read_b64 v[196:197], v26 offset:33888                   // 00000000A7F8: D8EC8460 C400001A
	ds_read_b64 v[198:199], v26 offset:34016                   // 00000000A800: D8EC84E0 C600001A
	s_waitcnt lgkmcnt(0)                                       // 00000000A808: BF8CC07F
	buffer_store_dwordx4 v[184:187], v10, s[40:43], 0 idxen    // 00000000A80C: E07C2000 800AB80A
	v_add_u32_e32 v10, s46, v10                                // 00000000A814: 6814142E
	buffer_store_dwordx4 v[188:191], v10, s[40:43], 0 idxen    // 00000000A818: E07C2000 800ABC0A
	v_add_u32_e32 v10, s46, v10                                // 00000000A820: 6814142E
	buffer_store_dwordx4 v[192:195], v10, s[40:43], 0 idxen    // 00000000A824: E07C2000 800AC00A
	v_add_u32_e32 v10, s46, v10                                // 00000000A82C: 6814142E
	buffer_store_dwordx4 v[196:199], v10, s[40:43], 0 idxen    // 00000000A830: E07C2000 800AC40A
	v_add_u32_e32 v10, s46, v10                                // 00000000A838: 6814142E
	s_mul_i32 s60, 12, s46                                     // 00000000A83C: 923C2E8C
	v_add_u32_e32 v10, s60, v10                                // 00000000A840: 6814143C
	s_cmp_ge_i32 3, s73                                        // 00000000A844: BF034983
	s_cbranch_scc1 label_1A93                                  // 00000000A848: BF850000

000000000000a84c <label_1A93>:
	s_waitcnt vmcnt(0) expcnt(0) lgkmcnt(0)                    // 00000000A84C: BF8C0000
	s_endpgm                                                   // 00000000A850: BF810000
